;; amdgpu-corpus repo=ROCm/rocFFT kind=compiled arch=gfx1201 opt=O3
	.text
	.amdgcn_target "amdgcn-amd-amdhsa--gfx1201"
	.amdhsa_code_object_version 6
	.protected	fft_rtc_back_len168_factors_2_3_4_7_wgs_196_tpt_14_dim3_sp_ip_CI_sbcc_twdbase8_3step_dirReg ; -- Begin function fft_rtc_back_len168_factors_2_3_4_7_wgs_196_tpt_14_dim3_sp_ip_CI_sbcc_twdbase8_3step_dirReg
	.globl	fft_rtc_back_len168_factors_2_3_4_7_wgs_196_tpt_14_dim3_sp_ip_CI_sbcc_twdbase8_3step_dirReg
	.p2align	8
	.type	fft_rtc_back_len168_factors_2_3_4_7_wgs_196_tpt_14_dim3_sp_ip_CI_sbcc_twdbase8_3step_dirReg,@function
fft_rtc_back_len168_factors_2_3_4_7_wgs_196_tpt_14_dim3_sp_ip_CI_sbcc_twdbase8_3step_dirReg: ; @fft_rtc_back_len168_factors_2_3_4_7_wgs_196_tpt_14_dim3_sp_ip_CI_sbcc_twdbase8_3step_dirReg
; %bb.0:
	s_load_b128 s[8:11], s[0:1], 0x10
	s_mov_b32 s3, 0
	s_mov_b32 s4, 0x49240800
	;; [unrolled: 1-line block ×4, first 2 shown]
	s_delay_alu instid0(SALU_CYCLE_1) | instskip(NEXT) | instid1(SALU_CYCLE_1)
	s_add_nc_u64 s[4:5], s[2:3], s[4:5]
	s_add_co_i32 s5, s5, 0x12492460
	s_delay_alu instid0(SALU_CYCLE_1) | instskip(NEXT) | instid1(SALU_CYCLE_1)
	s_mul_u64 s[6:7], s[4:5], -14
	s_mul_hi_u32 s15, s4, s7
	s_mul_i32 s14, s4, s7
	s_mul_hi_u32 s2, s4, s6
	s_mul_i32 s17, s5, s6
	s_add_nc_u64 s[14:15], s[2:3], s[14:15]
	s_mul_hi_u32 s16, s5, s6
	s_mul_hi_u32 s18, s5, s7
	s_add_co_u32 s2, s14, s17
	s_wait_kmcnt 0x0
	s_load_b64 s[12:13], s[8:9], 0x8
	s_add_co_ci_u32 s2, s15, s16
	s_mul_i32 s6, s5, s7
	s_add_co_ci_u32 s7, s18, 0
	s_delay_alu instid0(SALU_CYCLE_1) | instskip(NEXT) | instid1(SALU_CYCLE_1)
	s_add_nc_u64 s[6:7], s[2:3], s[6:7]
	v_add_co_u32 v1, s2, s4, s6
	s_delay_alu instid0(VALU_DEP_1) | instskip(SKIP_1) | instid1(VALU_DEP_1)
	s_cmp_lg_u32 s2, 0
	s_add_co_ci_u32 s14, s5, s7
	v_readfirstlane_b32 s15, v1
	s_wait_kmcnt 0x0
	s_add_nc_u64 s[4:5], s[12:13], -1
	s_wait_alu 0xfffe
	s_mul_hi_u32 s7, s4, s14
	s_mul_i32 s6, s4, s14
	s_mul_hi_u32 s2, s4, s15
	s_mul_hi_u32 s17, s5, s15
	s_mul_i32 s15, s5, s15
	s_wait_alu 0xfffe
	s_add_nc_u64 s[6:7], s[2:3], s[6:7]
	s_mul_hi_u32 s16, s5, s14
	s_wait_alu 0xfffe
	s_add_co_u32 s2, s6, s15
	s_add_co_ci_u32 s2, s7, s17
	s_mul_i32 s14, s5, s14
	s_add_co_ci_u32 s15, s16, 0
	s_delay_alu instid0(SALU_CYCLE_1) | instskip(SKIP_2) | instid1(SALU_CYCLE_1)
	s_add_nc_u64 s[6:7], s[2:3], s[14:15]
	s_wait_alu 0xfffe
	s_mul_u64 s[14:15], s[6:7], 14
	v_sub_co_u32 v1, s2, s4, s14
	s_delay_alu instid0(VALU_DEP_1) | instskip(SKIP_1) | instid1(VALU_DEP_1)
	s_cmp_lg_u32 s2, 0
	s_sub_co_ci_u32 s16, s5, s15
	v_sub_co_u32 v2, s4, v1, 14
	s_delay_alu instid0(VALU_DEP_1) | instskip(SKIP_2) | instid1(VALU_DEP_2)
	s_cmp_lg_u32 s4, 0
	v_readfirstlane_b32 s17, v1
	s_sub_co_ci_u32 s14, s16, 0
	v_readfirstlane_b32 s2, v2
	s_add_nc_u64 s[4:5], s[6:7], 1
	s_delay_alu instid0(VALU_DEP_1)
	s_cmp_gt_u32 s2, 13
	s_cselect_b32 s2, -1, 0
	s_wait_alu 0xfffe
	s_cmp_eq_u32 s14, 0
	s_add_nc_u64 s[14:15], s[6:7], 2
	s_cselect_b32 s2, s2, -1
	s_delay_alu instid0(SALU_CYCLE_1)
	s_cmp_lg_u32 s2, 0
	s_wait_alu 0xfffe
	s_cselect_b32 s2, s14, s4
	s_cselect_b32 s4, s15, s5
	s_cmp_gt_u32 s17, 13
	s_cselect_b32 s5, -1, 0
	s_cmp_eq_u32 s16, 0
	s_mov_b64 s[16:17], 0
	s_wait_alu 0xfffe
	s_cselect_b32 s5, s5, -1
	s_wait_alu 0xfffe
	s_cmp_lg_u32 s5, 0
	s_cselect_b32 s5, s4, s7
	s_cselect_b32 s4, s2, s6
	s_mov_b32 s2, ttmp9
	s_wait_alu 0xfffe
	s_add_nc_u64 s[14:15], s[4:5], 1
	s_wait_alu 0xfffe
	v_cmp_lt_u64_e64 s4, s[2:3], s[14:15]
	s_delay_alu instid0(VALU_DEP_1)
	s_and_b32 vcc_lo, exec_lo, s4
	s_cbranch_vccnz .LBB0_2
; %bb.1:
	v_cvt_f32_u32_e32 v1, s14
	s_sub_co_i32 s5, 0, s14
	s_mov_b32 s17, s3
	s_delay_alu instid0(VALU_DEP_1) | instskip(NEXT) | instid1(TRANS32_DEP_1)
	v_rcp_iflag_f32_e32 v1, v1
	v_mul_f32_e32 v1, 0x4f7ffffe, v1
	s_delay_alu instid0(VALU_DEP_1) | instskip(NEXT) | instid1(VALU_DEP_1)
	v_cvt_u32_f32_e32 v1, v1
	v_readfirstlane_b32 s4, v1
	s_wait_alu 0xfffe
	s_delay_alu instid0(VALU_DEP_1)
	s_mul_i32 s5, s5, s4
	s_wait_alu 0xfffe
	s_mul_hi_u32 s5, s4, s5
	s_wait_alu 0xfffe
	s_add_co_i32 s4, s4, s5
	s_wait_alu 0xfffe
	s_mul_hi_u32 s4, s2, s4
	s_wait_alu 0xfffe
	s_mul_i32 s5, s4, s14
	s_add_co_i32 s6, s4, 1
	s_wait_alu 0xfffe
	s_sub_co_i32 s5, s2, s5
	s_wait_alu 0xfffe
	s_sub_co_i32 s7, s5, s14
	s_cmp_ge_u32 s5, s14
	s_cselect_b32 s4, s6, s4
	s_wait_alu 0xfffe
	s_cselect_b32 s5, s7, s5
	s_add_co_i32 s6, s4, 1
	s_wait_alu 0xfffe
	s_cmp_ge_u32 s5, s14
	s_cselect_b32 s16, s6, s4
.LBB0_2:
	s_load_b64 s[8:9], s[8:9], 0x10
	s_mov_b64 s[18:19], s[16:17]
	s_wait_kmcnt 0x0
	v_cmp_lt_u64_e64 s4, s[16:17], s[8:9]
	s_delay_alu instid0(VALU_DEP_1)
	s_and_b32 vcc_lo, exec_lo, s4
	s_cbranch_vccnz .LBB0_4
; %bb.3:
	v_cvt_f32_u32_e32 v1, s8
	s_sub_co_i32 s5, 0, s8
	s_mov_b32 s19, 0
	s_delay_alu instid0(VALU_DEP_1) | instskip(NEXT) | instid1(TRANS32_DEP_1)
	v_rcp_iflag_f32_e32 v1, v1
	v_mul_f32_e32 v1, 0x4f7ffffe, v1
	s_delay_alu instid0(VALU_DEP_1) | instskip(NEXT) | instid1(VALU_DEP_1)
	v_cvt_u32_f32_e32 v1, v1
	v_readfirstlane_b32 s4, v1
	s_wait_alu 0xfffe
	s_delay_alu instid0(VALU_DEP_1)
	s_mul_i32 s5, s5, s4
	s_wait_alu 0xfffe
	s_mul_hi_u32 s5, s4, s5
	s_wait_alu 0xfffe
	s_add_co_i32 s4, s4, s5
	s_wait_alu 0xfffe
	s_mul_hi_u32 s4, s16, s4
	s_wait_alu 0xfffe
	s_mul_i32 s4, s4, s8
	s_wait_alu 0xfffe
	s_sub_co_i32 s4, s16, s4
	s_wait_alu 0xfffe
	s_sub_co_i32 s5, s4, s8
	s_cmp_ge_u32 s4, s8
	s_wait_alu 0xfffe
	s_cselect_b32 s4, s5, s4
	s_wait_alu 0xfffe
	s_sub_co_i32 s5, s4, s8
	s_cmp_ge_u32 s4, s8
	s_wait_alu 0xfffe
	s_cselect_b32 s18, s5, s4
.LBB0_4:
	s_clause 0x1
	s_load_b128 s[4:7], s[10:11], 0x0
	s_load_b64 s[20:21], s[10:11], 0x10
	s_mul_u64 s[8:9], s[8:9], s[14:15]
	s_mov_b64 s[22:23], 0
	s_wait_alu 0xfffe
	v_cmp_lt_u64_e64 s9, s[2:3], s[8:9]
	s_delay_alu instid0(VALU_DEP_1)
	s_and_b32 vcc_lo, exec_lo, s9
	s_cbranch_vccnz .LBB0_6
; %bb.5:
	v_cvt_f32_u32_e32 v1, s8
	s_sub_co_i32 s22, 0, s8
	s_delay_alu instid0(VALU_DEP_1) | instskip(NEXT) | instid1(TRANS32_DEP_1)
	v_rcp_iflag_f32_e32 v1, v1
	v_mul_f32_e32 v1, 0x4f7ffffe, v1
	s_delay_alu instid0(VALU_DEP_1) | instskip(NEXT) | instid1(VALU_DEP_1)
	v_cvt_u32_f32_e32 v1, v1
	v_readfirstlane_b32 s9, v1
	s_delay_alu instid0(VALU_DEP_1) | instskip(NEXT) | instid1(SALU_CYCLE_1)
	s_mul_i32 s22, s22, s9
	s_mul_hi_u32 s22, s9, s22
	s_delay_alu instid0(SALU_CYCLE_1)
	s_add_co_i32 s9, s9, s22
	s_wait_alu 0xfffe
	s_mul_hi_u32 s9, s2, s9
	s_wait_alu 0xfffe
	s_mul_i32 s22, s9, s8
	s_add_co_i32 s23, s9, 1
	s_sub_co_i32 s22, s2, s22
	s_delay_alu instid0(SALU_CYCLE_1)
	s_sub_co_i32 s24, s22, s8
	s_cmp_ge_u32 s22, s8
	s_cselect_b32 s9, s23, s9
	s_cselect_b32 s22, s24, s22
	s_wait_alu 0xfffe
	s_add_co_i32 s24, s9, 1
	s_cmp_ge_u32 s22, s8
	s_mov_b32 s23, 0
	s_cselect_b32 s22, s24, s9
.LBB0_6:
	v_mul_u32_u24_e32 v1, 0x124a, v0
	s_load_b64 s[10:11], s[10:11], 0x18
	s_mul_u64 s[8:9], s[16:17], s[14:15]
	s_wait_alu 0xfffe
	s_sub_nc_u64 s[2:3], s[2:3], s[8:9]
	v_lshrrev_b32_e32 v86, 16, v1
	s_clause 0x1
	s_load_b64 s[14:15], s[0:1], 0x0
	s_load_b64 s[8:9], s[0:1], 0x50
	s_mul_u64 s[16:17], s[2:3], 14
	s_wait_kmcnt 0x0
	s_mul_u64 s[2:3], s[20:21], s[18:19]
	s_wait_alu 0xfffe
	s_mul_u64 s[18:19], s[6:7], s[16:17]
	v_mul_lo_u16 v1, v86, 14
	s_add_nc_u64 s[20:21], s[16:17], 14
	s_add_nc_u64 s[18:19], s[2:3], s[18:19]
	v_cmp_gt_u64_e64 s2, s[20:21], s[12:13]
	v_cmp_le_u64_e64 s3, s[20:21], s[12:13]
	v_sub_nc_u16 v1, v0, v1
	v_add_nc_u32_e32 v28, 14, v86
	v_add_nc_u32_e32 v29, 28, v86
	v_add_nc_u32_e32 v30, 42, v86
	s_and_b32 vcc_lo, exec_lo, s2
	v_and_b32_e32 v88, 0xffff, v1
	v_add_nc_u32_e32 v31, 56, v86
	s_mul_u64 s[10:11], s[10:11], s[22:23]
	s_delay_alu instid0(SALU_CYCLE_1) | instskip(NEXT) | instid1(VALU_DEP_2)
	s_add_nc_u64 s[10:11], s[10:11], s[18:19]
	v_add_co_u32 v24, s2, s16, v88
	s_wait_alu 0xf1ff
	v_add_co_ci_u32_e64 v25, null, s17, 0, s2
	s_mov_b32 s2, 0
	s_cbranch_vccnz .LBB0_8
; %bb.7:
	v_mad_co_u64_u32 v[1:2], null, s6, v88, 0
	v_mad_co_u64_u32 v[3:4], null, s4, v86, 0
	v_add_nc_u32_e32 v15, 0x62, v86
	s_lshl_b64 s[16:17], s[10:11], 3
	v_add_nc_u32_e32 v23, 28, v86
	s_wait_alu 0xfffe
	s_add_nc_u64 s[16:17], s[8:9], s[16:17]
	v_add_nc_u32_e32 v33, 42, v86
	v_add_nc_u32_e32 v39, 0x46, v86
	v_mad_co_u64_u32 v[5:6], null, s7, v88, v[2:3]
	v_add_nc_u32_e32 v13, 0x54, v86
	s_delay_alu instid0(VALU_DEP_4) | instskip(NEXT) | instid1(VALU_DEP_4)
	v_mad_co_u64_u32 v[18:19], null, s4, v33, 0
	v_mad_co_u64_u32 v[26:27], null, s4, v39, 0
	v_add_nc_u32_e32 v20, 0x70, v86
	v_mov_b32_e32 v2, v5
	v_mad_co_u64_u32 v[10:11], null, s5, v86, v[4:5]
	v_add_nc_u32_e32 v87, 14, v86
	v_mad_co_u64_u32 v[6:7], null, s4, v13, 0
	s_delay_alu instid0(VALU_DEP_4)
	v_lshlrev_b64_e32 v[1:2], 3, v[1:2]
	v_mad_co_u64_u32 v[11:12], null, s4, v15, 0
	v_mov_b32_e32 v4, v10
	v_mad_co_u64_u32 v[8:9], null, s4, v87, 0
	v_mov_b32_e32 v5, v7
	s_wait_alu 0xfffe
	v_add_co_u32 v43, vcc_lo, s16, v1
	v_lshlrev_b64_e32 v[3:4], 3, v[3:4]
	v_add_co_ci_u32_e32 v44, vcc_lo, s17, v2, vcc_lo
	v_mov_b32_e32 v7, v9
	v_mad_co_u64_u32 v[9:10], null, s5, v13, v[5:6]
	s_delay_alu instid0(VALU_DEP_4) | instskip(NEXT) | instid1(VALU_DEP_3)
	v_add_co_u32 v1, vcc_lo, v43, v3
	v_mad_co_u64_u32 v[13:14], null, s5, v87, v[7:8]
	s_wait_alu 0xfffd
	v_add_co_ci_u32_e32 v2, vcc_lo, v44, v4, vcc_lo
	s_delay_alu instid0(VALU_DEP_4) | instskip(SKIP_1) | instid1(VALU_DEP_4)
	v_mov_b32_e32 v7, v9
	v_dual_mov_b32 v3, v12 :: v_dual_add_nc_u32 v32, 56, v86
	v_dual_mov_b32 v9, v13 :: v_dual_add_nc_u32 v34, 0x8c, v86
	s_delay_alu instid0(VALU_DEP_3) | instskip(NEXT) | instid1(VALU_DEP_1)
	v_lshlrev_b64_e32 v[4:5], 3, v[6:7]
	v_mad_co_u64_u32 v[6:7], null, s5, v15, v[3:4]
	s_delay_alu instid0(VALU_DEP_3)
	v_lshlrev_b64_e32 v[7:8], 3, v[8:9]
	v_mad_co_u64_u32 v[9:10], null, s4, v23, 0
	v_add_co_u32 v3, vcc_lo, v43, v4
	s_wait_alu 0xfffd
	v_add_co_ci_u32_e32 v4, vcc_lo, v44, v5, vcc_lo
	v_mov_b32_e32 v12, v6
	v_add_co_u32 v13, vcc_lo, v43, v7
	v_mov_b32_e32 v5, v10
	s_wait_alu 0xfffd
	v_add_co_ci_u32_e32 v14, vcc_lo, v44, v8, vcc_lo
	v_lshlrev_b64_e32 v[6:7], 3, v[11:12]
	v_mad_co_u64_u32 v[11:12], null, s4, v20, 0
	s_delay_alu instid0(VALU_DEP_2) | instskip(SKIP_1) | instid1(VALU_DEP_3)
	v_mad_co_u64_u32 v[15:16], null, s5, v23, v[5:6]
	v_add_co_u32 v16, vcc_lo, v43, v6
	v_mov_b32_e32 v5, v12
	s_wait_alu 0xfffd
	v_add_co_ci_u32_e32 v17, vcc_lo, v44, v7, vcc_lo
	s_delay_alu instid0(VALU_DEP_4) | instskip(NEXT) | instid1(VALU_DEP_3)
	v_mov_b32_e32 v10, v15
	v_mad_co_u64_u32 v[20:21], null, s5, v20, v[5:6]
	s_clause 0x3
	global_load_b64 v[5:6], v[1:2], off
	global_load_b64 v[7:8], v[3:4], off
	;; [unrolled: 1-line block ×4, first 2 shown]
	v_mov_b32_e32 v13, v19
	v_add_nc_u32_e32 v21, 0x7e, v86
	v_mad_co_u64_u32 v[16:17], null, s4, v32, 0
	v_lshlrev_b64_e32 v[9:10], 3, v[9:10]
	s_delay_alu instid0(VALU_DEP_4) | instskip(NEXT) | instid1(VALU_DEP_4)
	v_mad_co_u64_u32 v[13:14], null, s5, v33, v[13:14]
	v_mad_co_u64_u32 v[14:15], null, s4, v21, 0
	v_mov_b32_e32 v12, v20
	s_delay_alu instid0(VALU_DEP_4)
	v_add_co_u32 v9, vcc_lo, v43, v9
	s_wait_alu 0xfffd
	v_add_co_ci_u32_e32 v10, vcc_lo, v44, v10, vcc_lo
	v_mov_b32_e32 v19, v13
	v_mov_b32_e32 v13, v15
	v_lshlrev_b64_e32 v[11:12], 3, v[11:12]
	s_delay_alu instid0(VALU_DEP_2)
	v_mad_co_u64_u32 v[20:21], null, s5, v21, v[13:14]
	v_mad_co_u64_u32 v[21:22], null, s4, v34, 0
	v_mov_b32_e32 v13, v17
	v_lshlrev_b64_e32 v[17:18], 3, v[18:19]
	v_add_co_u32 v11, vcc_lo, v43, v11
	v_mov_b32_e32 v15, v20
	s_delay_alu instid0(VALU_DEP_4) | instskip(SKIP_4) | instid1(VALU_DEP_3)
	v_mad_co_u64_u32 v[19:20], null, s5, v32, v[13:14]
	v_dual_mov_b32 v13, v22 :: v_dual_add_nc_u32 v20, 0x9a, v86
	s_wait_alu 0xfffd
	v_add_co_ci_u32_e32 v12, vcc_lo, v44, v12, vcc_lo
	v_add_co_u32 v37, vcc_lo, v43, v17
	v_mad_co_u64_u32 v[34:35], null, s5, v34, v[13:14]
	v_mad_co_u64_u32 v[35:36], null, s4, v20, 0
	v_lshlrev_b64_e32 v[14:15], 3, v[14:15]
	v_mov_b32_e32 v13, v27
	s_wait_alu 0xfffd
	v_add_co_ci_u32_e32 v38, vcc_lo, v44, v18, vcc_lo
	v_dual_mov_b32 v17, v19 :: v_dual_mov_b32 v22, v34
	s_delay_alu instid0(VALU_DEP_3) | instskip(SKIP_2) | instid1(VALU_DEP_4)
	v_mad_co_u64_u32 v[18:19], null, s5, v39, v[13:14]
	v_mov_b32_e32 v13, v36
	v_add_co_u32 v14, vcc_lo, v43, v14
	v_lshlrev_b64_e32 v[16:17], 3, v[16:17]
	s_wait_alu 0xfffd
	v_add_co_ci_u32_e32 v15, vcc_lo, v44, v15, vcc_lo
	s_delay_alu instid0(VALU_DEP_3)
	v_mad_co_u64_u32 v[19:20], null, s5, v20, v[13:14]
	v_mov_b32_e32 v27, v18
	v_lshlrev_b64_e32 v[20:21], 3, v[21:22]
	v_add_co_u32 v39, vcc_lo, v43, v16
	s_wait_alu 0xfffd
	v_add_co_ci_u32_e32 v40, vcc_lo, v44, v17, vcc_lo
	v_mov_b32_e32 v36, v19
	v_lshlrev_b64_e32 v[16:17], 3, v[26:27]
	v_add_co_u32 v41, vcc_lo, v43, v20
	s_wait_alu 0xfffd
	v_add_co_ci_u32_e32 v42, vcc_lo, v44, v21, vcc_lo
	v_lshlrev_b64_e32 v[18:19], 3, v[35:36]
	s_delay_alu instid0(VALU_DEP_4) | instskip(SKIP_2) | instid1(VALU_DEP_3)
	v_add_co_u32 v34, vcc_lo, v43, v16
	s_wait_alu 0xfffd
	v_add_co_ci_u32_e32 v35, vcc_lo, v44, v17, vcc_lo
	v_add_co_u32 v43, vcc_lo, v43, v18
	s_wait_alu 0xfffd
	v_add_co_ci_u32_e32 v44, vcc_lo, v44, v19, vcc_lo
	s_clause 0x7
	global_load_b64 v[19:20], v[9:10], off
	global_load_b64 v[26:27], v[11:12], off
	;; [unrolled: 1-line block ×8, first 2 shown]
	s_and_not1_b32 vcc_lo, exec_lo, s2
	s_wait_alu 0xfffe
	s_cbranch_vccz .LBB0_9
	s_branch .LBB0_14
.LBB0_8:
                                        ; implicit-def: $vgpr1
                                        ; implicit-def: $vgpr13
                                        ; implicit-def: $vgpr9
                                        ; implicit-def: $vgpr15
                                        ; implicit-def: $vgpr11
                                        ; implicit-def: $vgpr21
                                        ; implicit-def: $vgpr17
                                        ; implicit-def: $vgpr26
                                        ; implicit-def: $vgpr19
                                        ; implicit-def: $vgpr3
                                        ; implicit-def: $vgpr7
                                        ; implicit-def: $vgpr5
                                        ; implicit-def: $vgpr87
                                        ; implicit-def: $vgpr23
                                        ; implicit-def: $vgpr33
                                        ; implicit-def: $vgpr32
.LBB0_9:
	s_mov_b32 s2, exec_lo
                                        ; implicit-def: $vgpr87
                                        ; implicit-def: $vgpr23
                                        ; implicit-def: $vgpr33
                                        ; implicit-def: $vgpr32
	s_delay_alu instid0(VALU_DEP_1)
	v_cmpx_le_u64_e64 s[12:13], v[24:25]
	s_wait_alu 0xfffe
	s_xor_b32 s2, exec_lo, s2
; %bb.10:
	v_add_nc_u32_e32 v87, 14, v86
	v_add_nc_u32_e32 v23, 28, v86
	;; [unrolled: 1-line block ×4, first 2 shown]
                                        ; implicit-def: $vgpr28
                                        ; implicit-def: $vgpr29
                                        ; implicit-def: $vgpr30
                                        ; implicit-def: $vgpr31
; %bb.11:
	s_wait_alu 0xfffe
	s_or_saveexec_b32 s2, s2
                                        ; implicit-def: $vgpr1
                                        ; implicit-def: $vgpr13
                                        ; implicit-def: $vgpr9
                                        ; implicit-def: $vgpr15
                                        ; implicit-def: $vgpr11
                                        ; implicit-def: $vgpr21
                                        ; implicit-def: $vgpr17
                                        ; implicit-def: $vgpr26
                                        ; implicit-def: $vgpr19
                                        ; implicit-def: $vgpr3
                                        ; implicit-def: $vgpr7
                                        ; implicit-def: $vgpr5
	s_wait_alu 0xfffe
	s_xor_b32 exec_lo, exec_lo, s2
	s_cbranch_execz .LBB0_13
; %bb.12:
	s_wait_loadcnt 0x8
	v_mad_co_u64_u32 v[1:2], null, s6, v88, 0
	v_mad_co_u64_u32 v[3:4], null, s4, v86, 0
	s_wait_loadcnt 0x0
	v_add_nc_u32_e32 v13, 0x54, v86
	v_mad_co_u64_u32 v[5:6], null, s4, v28, 0
	v_add_nc_u32_e32 v14, 0x62, v86
	s_lshl_b64 s[16:17], s[10:11], 3
	s_delay_alu instid0(VALU_DEP_3) | instskip(SKIP_1) | instid1(VALU_DEP_4)
	v_mad_co_u64_u32 v[7:8], null, s4, v13, 0
	v_mad_co_u64_u32 v[9:10], null, s7, v88, v[2:3]
	;; [unrolled: 1-line block ×4, first 2 shown]
	s_delay_alu instid0(VALU_DEP_4) | instskip(NEXT) | instid1(VALU_DEP_4)
	v_dual_mov_b32 v4, v8 :: v_dual_add_nc_u32 v19, 0x70, v86
	v_mov_b32_e32 v2, v9
	s_wait_alu 0xfffe
	s_add_nc_u64 s[16:17], s[8:9], s[16:17]
	v_add_nc_u32_e32 v23, 0x8c, v86
	v_mad_co_u64_u32 v[8:9], null, s5, v13, v[4:5]
	v_mov_b32_e32 v4, v10
	v_lshlrev_b64_e32 v[1:2], 3, v[1:2]
	v_mad_co_u64_u32 v[9:10], null, s5, v28, v[6:7]
	v_mov_b32_e32 v10, v12
	s_delay_alu instid0(VALU_DEP_4)
	v_lshlrev_b64_e32 v[3:4], 3, v[3:4]
	v_dual_mov_b32 v87, v28 :: v_dual_add_nc_u32 v34, 0x46, v86
	s_wait_alu 0xfffe
	v_add_co_u32 v39, vcc_lo, s16, v1
	s_wait_alu 0xfffd
	v_add_co_ci_u32_e32 v40, vcc_lo, s17, v2, vcc_lo
	v_mov_b32_e32 v6, v9
	s_delay_alu instid0(VALU_DEP_3) | instskip(SKIP_1) | instid1(VALU_DEP_3)
	v_add_co_u32 v1, vcc_lo, v39, v3
	s_wait_alu 0xfffd
	v_add_co_ci_u32_e32 v2, vcc_lo, v40, v4, vcc_lo
	v_lshlrev_b64_e32 v[3:4], 3, v[7:8]
	v_mad_co_u64_u32 v[7:8], null, s5, v14, v[10:11]
	v_mad_co_u64_u32 v[9:10], null, s4, v29, 0
	v_lshlrev_b64_e32 v[5:6], 3, v[5:6]
	v_mad_co_u64_u32 v[13:14], null, s4, v19, 0
	v_add_co_u32 v3, vcc_lo, v39, v3
	s_delay_alu instid0(VALU_DEP_4) | instskip(SKIP_3) | instid1(VALU_DEP_3)
	v_dual_mov_b32 v12, v7 :: v_dual_mov_b32 v7, v10
	s_wait_alu 0xfffd
	v_add_co_ci_u32_e32 v4, vcc_lo, v40, v4, vcc_lo
	v_add_co_u32 v15, vcc_lo, v39, v5
	v_mad_co_u64_u32 v[7:8], null, s5, v29, v[7:8]
	s_wait_alu 0xfffd
	v_add_co_ci_u32_e32 v16, vcc_lo, v40, v6, vcc_lo
	v_lshlrev_b64_e32 v[5:6], 3, v[11:12]
	v_mov_b32_e32 v8, v14
	v_mad_co_u64_u32 v[11:12], null, s4, v30, 0
	v_mad_co_u64_u32 v[26:27], null, s4, v34, 0
	s_delay_alu instid0(VALU_DEP_3)
	v_mad_co_u64_u32 v[19:20], null, s5, v19, v[8:9]
	v_add_co_u32 v17, vcc_lo, v39, v5
	v_add_nc_u32_e32 v20, 0x7e, v86
	s_wait_alu 0xfffd
	v_add_co_ci_u32_e32 v18, vcc_lo, v40, v6, vcc_lo
	v_mov_b32_e32 v10, v7
	s_clause 0x3
	global_load_b64 v[5:6], v[1:2], off
	global_load_b64 v[7:8], v[3:4], off
	;; [unrolled: 1-line block ×4, first 2 shown]
	v_mad_co_u64_u32 v[15:16], null, s5, v30, v[12:13]
	v_mad_co_u64_u32 v[16:17], null, s4, v20, 0
	v_mov_b32_e32 v14, v19
	v_mad_co_u64_u32 v[18:19], null, s4, v31, 0
	s_delay_alu instid0(VALU_DEP_3) | instskip(NEXT) | instid1(VALU_DEP_1)
	v_dual_mov_b32 v12, v15 :: v_dual_mov_b32 v15, v17
	v_lshlrev_b64_e32 v[11:12], 3, v[11:12]
	s_delay_alu instid0(VALU_DEP_2) | instskip(SKIP_2) | instid1(VALU_DEP_3)
	v_mad_co_u64_u32 v[20:21], null, s5, v20, v[15:16]
	v_mad_co_u64_u32 v[21:22], null, s4, v23, 0
	v_mov_b32_e32 v15, v19
	v_mov_b32_e32 v17, v20
	s_delay_alu instid0(VALU_DEP_2) | instskip(NEXT) | instid1(VALU_DEP_4)
	v_mad_co_u64_u32 v[19:20], null, s5, v31, v[15:16]
	v_dual_mov_b32 v15, v22 :: v_dual_add_nc_u32 v20, 0x9a, v86
	s_delay_alu instid0(VALU_DEP_1)
	v_mad_co_u64_u32 v[22:23], null, s5, v23, v[15:16]
	v_mov_b32_e32 v23, v29
	v_lshlrev_b64_e32 v[16:17], 3, v[16:17]
	v_mov_b32_e32 v15, v27
	v_lshlrev_b64_e32 v[9:10], 3, v[9:10]
	v_mad_co_u64_u32 v[32:33], null, s4, v20, 0
	s_delay_alu instid0(VALU_DEP_3) | instskip(NEXT) | instid1(VALU_DEP_3)
	v_mad_co_u64_u32 v[34:35], null, s5, v34, v[15:16]
	v_add_co_u32 v9, vcc_lo, v39, v9
	s_wait_alu 0xfffd
	s_delay_alu instid0(VALU_DEP_4) | instskip(NEXT) | instid1(VALU_DEP_4)
	v_add_co_ci_u32_e32 v10, vcc_lo, v40, v10, vcc_lo
	v_mov_b32_e32 v15, v33
	s_delay_alu instid0(VALU_DEP_4) | instskip(SKIP_1) | instid1(VALU_DEP_1)
	v_mov_b32_e32 v27, v34
	v_lshlrev_b64_e32 v[13:14], 3, v[13:14]
	v_add_co_u32 v13, vcc_lo, v39, v13
	s_wait_alu 0xfffd
	s_delay_alu instid0(VALU_DEP_2)
	v_add_co_ci_u32_e32 v14, vcc_lo, v40, v14, vcc_lo
	v_add_co_u32 v11, vcc_lo, v39, v11
	s_wait_alu 0xfffd
	v_add_co_ci_u32_e32 v12, vcc_lo, v40, v12, vcc_lo
	v_add_co_u32 v35, vcc_lo, v39, v16
	s_wait_alu 0xfffd
	v_add_co_ci_u32_e32 v36, vcc_lo, v40, v17, vcc_lo
	v_lshlrev_b64_e32 v[16:17], 3, v[18:19]
	s_delay_alu instid0(VALU_DEP_1)
	v_mad_co_u64_u32 v[18:19], null, s5, v20, v[15:16]
	v_lshlrev_b64_e32 v[19:20], 3, v[21:22]
	v_add_co_u32 v15, vcc_lo, v39, v16
	v_lshlrev_b64_e32 v[21:22], 3, v[26:27]
	s_wait_alu 0xfffd
	v_add_co_ci_u32_e32 v16, vcc_lo, v40, v17, vcc_lo
	v_mov_b32_e32 v33, v18
	v_add_co_u32 v37, vcc_lo, v39, v19
	s_wait_alu 0xfffd
	v_add_co_ci_u32_e32 v38, vcc_lo, v40, v20, vcc_lo
	s_delay_alu instid0(VALU_DEP_3) | instskip(SKIP_3) | instid1(VALU_DEP_3)
	v_lshlrev_b64_e32 v[17:18], 3, v[32:33]
	v_add_co_u32 v32, vcc_lo, v39, v21
	s_wait_alu 0xfffd
	v_add_co_ci_u32_e32 v33, vcc_lo, v40, v22, vcc_lo
	v_add_co_u32 v39, vcc_lo, v39, v17
	s_wait_alu 0xfffd
	v_add_co_ci_u32_e32 v40, vcc_lo, v40, v18, vcc_lo
	s_clause 0x7
	global_load_b64 v[19:20], v[9:10], off
	global_load_b64 v[26:27], v[13:14], off
	;; [unrolled: 1-line block ×8, first 2 shown]
	v_dual_mov_b32 v33, v30 :: v_dual_mov_b32 v32, v31
.LBB0_13:
	s_or_b32 exec_lo, exec_lo, s2
.LBB0_14:
	s_wait_loadcnt 0xa
	v_dual_sub_f32 v7, v5, v7 :: v_dual_sub_f32 v8, v6, v8
	s_wait_loadcnt 0x8
	v_dual_sub_f32 v28, v3, v1 :: v_dual_sub_f32 v29, v4, v2
	v_mul_u32_u24_e32 v1, 0xe0, v86
	v_lshlrev_b32_e32 v2, 3, v88
	v_mul_i32_i24_e32 v30, 0xe0, v87
	v_fma_f32 v5, v5, 2.0, -v7
	v_fma_f32 v6, v6, 2.0, -v8
	s_wait_loadcnt 0x6
	v_dual_sub_f32 v26, v19, v26 :: v_dual_sub_f32 v27, v20, v27
	v_add3_u32 v1, 0, v1, v2
	v_mul_i32_i24_e32 v31, 0xe0, v23
	v_fma_f32 v3, v3, 2.0, -v28
	v_fma_f32 v4, v4, 2.0, -v29
	s_wait_loadcnt 0x4
	v_dual_sub_f32 v21, v17, v21 :: v_dual_sub_f32 v22, v18, v22
	v_add3_u32 v30, 0, v30, v2
	v_mul_i32_i24_e32 v34, 0xe0, v33
	s_wait_loadcnt 0x2
	v_dual_sub_f32 v15, v11, v15 :: v_dual_sub_f32 v16, v12, v16
	v_mul_i32_i24_e32 v35, 0xe0, v32
	s_wait_loadcnt 0x0
	v_dual_sub_f32 v13, v9, v13 :: v_dual_sub_f32 v14, v10, v14
	v_fma_f32 v19, v19, 2.0, -v26
	v_fma_f32 v20, v20, 2.0, -v27
	ds_store_2addr_b64 v1, v[5:6], v[7:8] offset1:14
	ds_store_2addr_b64 v30, v[3:4], v[28:29] offset1:14
	v_add3_u32 v3, 0, v31, v2
	v_and_b32_e32 v29, 1, v86
	v_fma_f32 v17, v17, 2.0, -v21
	v_fma_f32 v18, v18, 2.0, -v22
	v_add3_u32 v4, 0, v34, v2
	v_fma_f32 v11, v11, 2.0, -v15
	v_fma_f32 v12, v12, 2.0, -v16
	v_add3_u32 v28, 0, v35, v2
	v_fma_f32 v9, v9, 2.0, -v13
	v_fma_f32 v10, v10, 2.0, -v14
	v_add_nc_u32_e32 v1, 0x3800, v1
	ds_store_2addr_b64 v3, v[19:20], v[26:27] offset1:14
	ds_store_2addr_b64 v4, v[17:18], v[21:22] offset1:14
	;; [unrolled: 1-line block ×3, first 2 shown]
	ds_store_2addr_b64 v1, v[9:10], v[13:14] offset0:168 offset1:182
	v_lshlrev_b32_e32 v1, 4, v29
	global_wb scope:SCOPE_SE
	s_wait_dscnt 0x0
	s_barrier_signal -1
	s_barrier_wait -1
	global_inv scope:SCOPE_SE
	global_load_b128 v[5:8], v1, s[14:15]
	v_mul_u32_u24_e32 v1, 0x70, v86
	v_mul_i32_i24_e32 v9, 0x70, v23
	v_mul_i32_i24_e32 v10, 0x70, v33
	v_lshrrev_b32_e32 v11, 1, v86
	v_lshrrev_b32_e32 v12, 1, v87
	;; [unrolled: 1-line block ×4, first 2 shown]
	v_and_b32_e32 v17, 0xff, v23
	v_add3_u32 v3, 0, v1, v2
	v_mul_lo_u16 v15, v86, 43
	v_add3_u32 v48, 0, v9, v2
	v_add3_u32 v36, 0, v10, v2
	v_mul_u32_u24_e32 v9, 6, v11
	v_mul_lo_u32 v10, v12, 6
	v_mul_lo_u32 v11, v13, 6
	;; [unrolled: 1-line block ×3, first 2 shown]
	v_mul_i32_i24_e32 v4, 0x70, v87
	v_and_b32_e32 v16, 0xff, v87
	v_mul_lo_u16 v13, 0xab, v17
	v_add_nc_u32_e32 v14, 0x2a00, v3
	v_lshrrev_b16 v37, 8, v15
	v_add_nc_u32_e32 v15, 0x1e00, v3
	v_add_nc_u32_e32 v17, 0x3600, v3
	v_mad_i32_i24 v30, 0xffffff90, v32, v28
	v_add3_u32 v4, 0, v4, v2
	v_mul_lo_u16 v1, 0xab, v16
	v_or_b32_e32 v38, v9, v29
	v_lshrrev_b16 v43, 10, v13
	v_or_b32_e32 v40, v10, v29
	v_or_b32_e32 v41, v11, v29
	;; [unrolled: 1-line block ×3, first 2 shown]
	ds_load_b64 v[21:22], v3
	ds_load_2addr_b64 v[9:12], v14 offset0:28 offset1:224
	ds_load_2addr_b64 v[13:16], v15 offset0:20 offset1:216
	;; [unrolled: 1-line block ×3, first 2 shown]
	ds_load_b64 v[26:27], v48
	ds_load_b64 v[28:29], v36
	;; [unrolled: 1-line block ×4, first 2 shown]
	ds_load_b64 v[34:35], v3 offset:17248
	v_mul_lo_u16 v39, v37, 6
	v_lshrrev_b16 v42, 10, v1
	v_mul_lo_u32 v41, 0x70, v41
	v_mul_lo_u16 v46, v43, 6
	v_mul_lo_u32 v40, 0x70, v40
	v_sub_nc_u16 v39, v86, v39
	v_mul_lo_u16 v45, v42, 6
	v_mul_u32_u24_e32 v38, 0x70, v38
	v_sub_nc_u16 v23, v23, v46
	v_mul_lo_u32 v44, 0x70, v44
	v_and_b32_e32 v47, 0xff, v39
	v_sub_nc_u16 v39, v87, v45
	global_wb scope:SCOPE_SE
	s_wait_loadcnt_dscnt 0x0
	v_and_b32_e32 v49, 0xff, v23
	s_barrier_signal -1
	s_barrier_wait -1
	v_and_b32_e32 v46, 0xff, v39
	v_add3_u32 v39, 0, v41, v2
	global_inv scope:SCOPE_SE
	v_cmp_gt_u32_e64 s2, 0x8c, v0
	s_mov_b32 s16, 0
	v_dual_mul_f32 v53, v6, v14 :: v_dual_mul_f32 v62, v35, v8
	v_mul_u32_u24_e32 v45, 3, v47
	v_dual_mul_f32 v50, v6, v30 :: v_dual_mul_f32 v51, v8, v12
	v_mul_f32_e32 v52, v8, v11
	v_mul_f32_e32 v54, v6, v13
	s_delay_alu instid0(VALU_DEP_4)
	v_dual_mul_f32 v60, v8, v19 :: v_dual_lshlrev_b32 v41, 3, v45
	v_mul_f32_e32 v45, v6, v31
	v_mul_f32_e32 v55, v8, v18
	;; [unrolled: 1-line block ×3, first 2 shown]
	v_dual_mul_f32 v58, v6, v15 :: v_dual_mul_f32 v59, v8, v20
	v_fmac_f32_e32 v62, v34, v7
	v_dual_mul_f32 v8, v34, v8 :: v_dual_fmac_f32 v53, v5, v13
	v_fmac_f32_e32 v45, v5, v30
	v_fma_f32 v30, v5, v31, -v50
	v_mul_f32_e32 v57, v6, v16
	v_fmac_f32_e32 v51, v7, v11
	v_fma_f32 v11, v7, v12, -v52
	v_fma_f32 v12, v5, v14, -v54
	;; [unrolled: 1-line block ×4, first 2 shown]
	v_add_f32_e32 v8, v22, v30
	v_mul_f32_e32 v61, v6, v10
	v_mul_f32_e32 v6, v6, v9
	v_fma_f32 v13, v7, v18, -v56
	v_dual_sub_f32 v18, v45, v51 :: v_dual_fmac_f32 v55, v7, v17
	v_fmac_f32_e32 v57, v5, v15
	v_fma_f32 v15, v7, v20, -v60
	s_delay_alu instid0(VALU_DEP_4)
	v_sub_f32_e32 v20, v12, v13
	v_fmac_f32_e32 v61, v5, v9
	v_fma_f32 v5, v5, v10, -v6
	v_fmac_f32_e32 v59, v7, v19
	v_dual_add_f32 v9, v30, v11 :: v_dual_add_f32 v50, v27, v14
	v_add_f32_e32 v10, v32, v53
	s_delay_alu instid0(VALU_DEP_4)
	v_sub_f32_e32 v56, v5, v16
	v_dual_add_f32 v7, v45, v51 :: v_dual_add_f32 v34, v26, v57
	v_dual_add_f32 v6, v21, v45 :: v_dual_sub_f32 v45, v14, v15
	v_add_f32_e32 v58, v5, v16
	v_add_f32_e32 v14, v14, v15
	v_dual_sub_f32 v17, v30, v11 :: v_dual_add_f32 v54, v61, v62
	v_add_f32_e32 v30, v33, v12
	v_dual_add_f32 v19, v53, v55 :: v_dual_fmac_f32 v22, -0.5, v9
	v_dual_add_f32 v12, v12, v13 :: v_dual_add_f32 v35, v57, v59
	v_fma_f32 v21, -0.5, v7, v21
	v_sub_f32_e32 v31, v53, v55
	v_dual_sub_f32 v52, v57, v59 :: v_dual_add_f32 v53, v28, v61
	v_add_f32_e32 v57, v29, v5
	v_fma_f32 v32, -0.5, v19, v32
	v_fmac_f32_e32 v33, -0.5, v12
	v_dual_fmac_f32 v27, -0.5, v14 :: v_dual_fmamk_f32 v14, v18, 0x3f5db3d7, v22
	v_fma_f32 v26, -0.5, v35, v26
	v_add3_u32 v38, 0, v38, v2
	v_dual_sub_f32 v60, v61, v62 :: v_dual_add_f32 v5, v6, v51
	v_add_f32_e32 v6, v8, v11
	v_add_f32_e32 v8, v30, v13
	v_fma_f32 v28, -0.5, v54, v28
	v_fmac_f32_e32 v29, -0.5, v58
	v_fmamk_f32 v13, v17, 0xbf5db3d7, v21
	v_dual_add_f32 v9, v34, v59 :: v_dual_fmac_f32 v22, 0xbf5db3d7, v18
	v_fmac_f32_e32 v21, 0x3f5db3d7, v17
	v_add3_u32 v23, 0, v40, v2
	v_dual_add_f32 v7, v10, v55 :: v_dual_add_f32 v12, v57, v16
	v_dual_add_f32 v10, v50, v15 :: v_dual_add_f32 v11, v53, v62
	v_fmamk_f32 v16, v31, 0x3f5db3d7, v33
	v_fmamk_f32 v15, v20, 0xbf5db3d7, v32
	v_fmac_f32_e32 v32, 0x3f5db3d7, v20
	v_fmac_f32_e32 v33, 0xbf5db3d7, v31
	v_add3_u32 v40, 0, v44, v2
	v_mul_u32_u24_e32 v44, 3, v46
	v_fmamk_f32 v17, v45, 0xbf5db3d7, v26
	v_fmamk_f32 v18, v52, 0x3f5db3d7, v27
	v_fmac_f32_e32 v26, 0x3f5db3d7, v45
	v_fmac_f32_e32 v27, 0xbf5db3d7, v52
	v_fmamk_f32 v19, v56, 0xbf5db3d7, v28
	v_fmac_f32_e32 v28, 0x3f5db3d7, v56
	v_fmamk_f32 v20, v60, 0x3f5db3d7, v29
	v_fmac_f32_e32 v29, 0xbf5db3d7, v60
	ds_store_2addr_b64 v38, v[5:6], v[13:14] offset1:28
	ds_store_b64 v38, v[21:22] offset:448
	ds_store_2addr_b64 v23, v[7:8], v[15:16] offset1:28
	ds_store_b64 v23, v[32:33] offset:448
	;; [unrolled: 2-line block ×4, first 2 shown]
	global_wb scope:SCOPE_SE
	s_wait_dscnt 0x0
	s_barrier_signal -1
	s_barrier_wait -1
	global_inv scope:SCOPE_SE
	global_load_b128 v[6:9], v41, s[14:15] offset:32
	v_lshlrev_b32_e32 v5, 3, v44
	s_clause 0x1
	global_load_b64 v[22:23], v41, s[14:15] offset:48
	global_load_b128 v[10:13], v5, s[14:15] offset:32
	v_mul_u32_u24_e32 v14, 3, v49
	v_and_b32_e32 v20, 0xffff, v43
	v_add_nc_u32_e32 v26, 0x3000, v3
	s_delay_alu instid0(VALU_DEP_3)
	v_lshlrev_b32_e32 v18, 3, v14
	s_clause 0x2
	global_load_b64 v[38:39], v5, s[14:15] offset:48
	global_load_b128 v[14:17], v18, s[14:15] offset:32
	global_load_b64 v[40:41], v18, s[14:15] offset:48
	v_and_b32_e32 v18, 0xffff, v42
	ds_load_b64 v[42:43], v36
	v_mul_u32_u24_e32 v20, 24, v20
	v_mul_u32_u24_e32 v18, 24, v18
	s_delay_alu instid0(VALU_DEP_2) | instskip(NEXT) | instid1(VALU_DEP_2)
	v_or_b32_e32 v35, v20, v49
	v_or_b32_e32 v30, v18, v46
	s_delay_alu instid0(VALU_DEP_2) | instskip(NEXT) | instid1(VALU_DEP_2)
	v_mul_u32_u24_e32 v45, 0x70, v35
	v_mul_u32_u24_e32 v44, 0x70, v30
	s_delay_alu instid0(VALU_DEP_1) | instskip(SKIP_3) | instid1(VALU_DEP_2)
	v_add3_u32 v51, 0, v44, v2
	s_wait_loadcnt_dscnt 0x500
	v_dual_mul_f32 v52, v7, v43 :: v_dual_and_b32 v5, 0xffff, v37
	v_mul_f32_e32 v7, v7, v42
	v_fmac_f32_e32 v52, v6, v42
	s_delay_alu instid0(VALU_DEP_3) | instskip(NEXT) | instid1(VALU_DEP_3)
	v_mul_u32_u24_e32 v21, 24, v5
	v_fma_f32 v6, v6, v43, -v7
	s_delay_alu instid0(VALU_DEP_2) | instskip(NEXT) | instid1(VALU_DEP_1)
	v_or_b32_e32 v27, v21, v47
	v_mul_u32_u24_e32 v36, 0x70, v27
	ds_load_2addr_b64 v[26:29], v26 offset0:32 offset1:228
	v_add3_u32 v50, 0, v36, v2
	v_add3_u32 v2, 0, v45, v2
	s_wait_loadcnt_dscnt 0x400
	v_dual_mul_f32 v54, v23, v29 :: v_dual_add_nc_u32 v19, 0x2400, v3
	v_mul_f32_e32 v23, v23, v28
	s_delay_alu instid0(VALU_DEP_2) | instskip(SKIP_4) | instid1(VALU_DEP_2)
	v_fmac_f32_e32 v54, v22, v28
	ds_load_2addr_b64 v[18:21], v19 offset0:24 offset1:220
	s_wait_loadcnt_dscnt 0x300
	v_dual_mul_f32 v56, v13, v21 :: v_dual_add_nc_u32 v5, 0x1800, v3
	v_mul_f32_e32 v53, v9, v19
	v_dual_mul_f32 v9, v9, v18 :: v_dual_fmac_f32 v56, v12, v20
	ds_load_2addr_b64 v[30:33], v5 offset0:16 offset1:212
	v_add_nc_u32_e32 v34, 0x3c00, v3
	v_fma_f32 v7, v8, v19, -v9
	s_wait_loadcnt_dscnt 0x100
	v_mul_f32_e32 v58, v33, v15
	v_mul_f32_e32 v55, v11, v31
	;; [unrolled: 1-line block ×3, first 2 shown]
	ds_load_2addr_b64 v[34:37], v34 offset0:40 offset1:236
	ds_load_b64 v[44:45], v3
	ds_load_b64 v[46:47], v4
	;; [unrolled: 1-line block ×3, first 2 shown]
	v_dual_fmac_f32 v58, v32, v14 :: v_dual_mul_f32 v13, v13, v20
	v_mul_f32_e32 v59, v27, v17
	v_mul_f32_e32 v17, v26, v17
	v_fmac_f32_e32 v55, v10, v30
	v_fma_f32 v9, v10, v31, -v11
	v_fma_f32 v10, v12, v21, -v13
	v_fmac_f32_e32 v59, v26, v16
	v_fma_f32 v13, v27, v16, -v17
	v_mul_f32_e32 v15, v32, v15
	global_wb scope:SCOPE_SE
	s_wait_loadcnt_dscnt 0x0
	s_barrier_signal -1
	s_barrier_wait -1
	global_inv scope:SCOPE_SE
	v_sub_f32_e32 v16, v45, v7
	v_mul_f32_e32 v60, v37, v41
	v_dual_sub_f32 v20, v49, v13 :: v_dual_mul_f32 v57, v35, v39
	v_fma_f32 v12, v33, v14, -v15
	v_sub_f32_e32 v17, v46, v56
	s_delay_alu instid0(VALU_DEP_4)
	v_fmac_f32_e32 v60, v36, v40
	v_fmac_f32_e32 v53, v8, v18
	v_sub_f32_e32 v18, v47, v10
	v_fma_f32 v8, v22, v29, -v23
	v_sub_f32_e32 v7, v52, v54
	v_sub_f32_e32 v13, v58, v60
	;; [unrolled: 1-line block ×3, first 2 shown]
	v_fma_f32 v22, v45, 2.0, -v16
	v_sub_f32_e32 v8, v6, v8
	v_fma_f32 v23, v52, 2.0, -v7
	v_fma_f32 v33, v58, 2.0, -v13
	v_fmac_f32_e32 v57, v34, v38
	v_mul_f32_e32 v39, v34, v39
	v_fma_f32 v34, v46, 2.0, -v17
	v_fma_f32 v30, v6, 2.0, -v8
	s_delay_alu instid0(VALU_DEP_4) | instskip(NEXT) | instid1(VALU_DEP_4)
	v_dual_sub_f32 v7, v16, v7 :: v_dual_sub_f32 v10, v55, v57
	v_fma_f32 v11, v35, v38, -v39
	v_fma_f32 v35, v47, 2.0, -v18
	v_sub_f32_e32 v29, v20, v13
                                        ; implicit-def: $vgpr39
	s_delay_alu instid0(VALU_DEP_4) | instskip(NEXT) | instid1(VALU_DEP_4)
	v_sub_f32_e32 v27, v18, v10
	v_sub_f32_e32 v11, v9, v11
	s_delay_alu instid0(VALU_DEP_1) | instskip(SKIP_3) | instid1(VALU_DEP_4)
	v_dual_add_f32 v26, v17, v11 :: v_dual_sub_f32 v15, v44, v53
	v_mul_f32_e32 v41, v36, v41
	v_fma_f32 v32, v9, 2.0, -v11
	v_fma_f32 v36, v48, 2.0, -v19
	v_dual_sub_f32 v9, v22, v30 :: v_dual_add_f32 v6, v15, v8
	s_delay_alu instid0(VALU_DEP_4) | instskip(SKIP_3) | instid1(VALU_DEP_4)
	v_fma_f32 v14, v37, v40, -v41
	v_fma_f32 v21, v44, 2.0, -v15
	v_fma_f32 v37, v49, 2.0, -v20
	v_dual_sub_f32 v13, v35, v32 :: v_dual_sub_f32 v30, v36, v33
	v_sub_f32_e32 v14, v12, v14
	s_delay_alu instid0(VALU_DEP_4)
	v_sub_f32_e32 v8, v21, v23
	v_fma_f32 v31, v55, 2.0, -v10
	v_fma_f32 v11, v16, 2.0, -v7
	;; [unrolled: 1-line block ×4, first 2 shown]
	v_add_f32_e32 v28, v19, v14
	v_sub_f32_e32 v12, v34, v31
	v_fma_f32 v10, v15, 2.0, -v6
	v_fma_f32 v14, v17, 2.0, -v26
	v_sub_f32_e32 v31, v37, v38
	v_fma_f32 v16, v21, 2.0, -v8
	v_fma_f32 v17, v22, 2.0, -v9
	v_fma_f32 v15, v18, 2.0, -v27
	v_fma_f32 v32, v19, 2.0, -v28
	v_fma_f32 v18, v34, 2.0, -v12
	v_fma_f32 v19, v35, 2.0, -v13
	v_fma_f32 v34, v36, 2.0, -v30
	v_fma_f32 v35, v37, 2.0, -v31
	ds_store_2addr_b64 v50, v[8:9], v[6:7] offset0:168 offset1:252
	ds_store_2addr_b64 v50, v[16:17], v[10:11] offset1:84
	ds_store_2addr_b64 v51, v[18:19], v[14:15] offset1:84
	ds_store_2addr_b64 v51, v[12:13], v[26:27] offset0:168 offset1:252
	ds_store_2addr_b64 v2, v[34:35], v[32:33] offset1:84
	ds_store_2addr_b64 v2, v[30:31], v[28:29] offset0:168 offset1:252
	global_wb scope:SCOPE_SE
	s_wait_dscnt 0x0
	s_barrier_signal -1
	s_barrier_wait -1
	global_inv scope:SCOPE_SE
	ds_load_b64 v[40:41], v3
	ds_load_b64 v[52:53], v3 offset:2688
	ds_load_b64 v[50:51], v3 offset:5376
	;; [unrolled: 1-line block ×6, first 2 shown]
                                        ; implicit-def: $vgpr37
	s_and_saveexec_b32 s17, s2
	s_cbranch_execz .LBB0_16
; %bb.15:
	ds_load_2addr_b32 v[32:33], v5 offset0:200 offset1:201
	ds_load_b64 v[34:35], v3 offset:4256
	ds_load_b64 v[30:31], v3 offset:9632
	;; [unrolled: 1-line block ×4, first 2 shown]
	ds_load_b64 v[26:27], v4
	ds_load_b64 v[38:39], v3 offset:17696
.LBB0_16:
	s_wait_alu 0xfffe
	s_or_b32 exec_lo, exec_lo, s17
	v_mul_lo_u16 v0, v86, 11
	s_load_b64 s[0:1], s[0:1], 0x8
	s_and_not1_b32 vcc_lo, exec_lo, s3
	s_delay_alu instid0(VALU_DEP_1) | instskip(NEXT) | instid1(VALU_DEP_1)
	v_lshrrev_b16 v0, 8, v0
	v_mul_lo_u16 v0, v0, 24
	s_delay_alu instid0(VALU_DEP_1) | instskip(NEXT) | instid1(VALU_DEP_1)
	v_sub_nc_u16 v0, v86, v0
	v_and_b32_e32 v89, 0xff, v0
	s_delay_alu instid0(VALU_DEP_1) | instskip(NEXT) | instid1(VALU_DEP_1)
	v_mul_u32_u24_e32 v0, 6, v89
	v_lshlrev_b32_e32 v0, 3, v0
	s_clause 0x1
	global_load_b128 v[12:15], v0, s[14:15] offset:176
	global_load_b128 v[16:19], v0, s[14:15] offset:192
	s_wait_loadcnt_dscnt 0x104
	v_mul_f32_e32 v131, v15, v51
	global_load_b128 v[20:23], v0, s[14:15] offset:208
	v_mul_f32_e32 v130, v13, v53
	v_dual_mul_f32 v13, v13, v52 :: v_dual_add_nc_u32 v90, 24, v89
	v_mul_lo_u32 v2, v24, v89
	s_delay_alu instid0(VALU_DEP_3) | instskip(NEXT) | instid1(VALU_DEP_3)
	v_dual_fmac_f32 v130, v12, v52 :: v_dual_add_nc_u32 v91, 48, v89
	v_mul_lo_u32 v8, v24, v90
	s_wait_loadcnt_dscnt 0x102
	v_mul_f32_e32 v135, v19, v47
	v_add_nc_u32_e32 v93, 0x48, v89
	v_mul_lo_u32 v9, v24, v91
	v_fma_f32 v133, v12, v53, -v13
	v_and_b32_e32 v0, 0xff, v2
	v_lshrrev_b32_e32 v3, 5, v2
	v_dual_mul_f32 v15, v15, v50 :: v_dual_and_b32 v4, 0xff, v8
	v_lshrrev_b32_e32 v5, 5, v8
	s_delay_alu instid0(VALU_DEP_4) | instskip(NEXT) | instid1(VALU_DEP_4)
	v_dual_fmac_f32 v131, v14, v50 :: v_dual_lshlrev_b32 v0, 3, v0
	v_and_b32_e32 v3, 0x7f8, v3
	v_and_b32_e32 v6, 0xff, v9
	v_lshrrev_b32_e32 v7, 5, v9
	v_dual_fmac_f32 v135, v18, v46 :: v_dual_lshlrev_b32 v4, 3, v4
	s_wait_kmcnt 0x0
	s_clause 0x1
	global_load_b64 v[60:61], v0, s[0:1]
	global_load_b64 v[70:71], v3, s[0:1] offset:2048
	v_and_b32_e32 v0, 0x7f8, v5
	v_mul_lo_u32 v10, v24, v93
	v_fma_f32 v134, v14, v51, -v15
	v_mul_f32_e32 v15, v19, v46
	v_dual_mul_f32 v14, v17, v48 :: v_dual_lshlrev_b32 v3, 3, v6
	v_and_b32_e32 v5, 0x7f8, v7
	v_add_nc_u32_e32 v92, 0x78, v89
	v_lshrrev_b32_e32 v8, 13, v8
	v_fma_f32 v139, v18, v47, -v15
	v_fma_f32 v137, v16, v49, -v14
	v_lshrrev_b32_e32 v9, 13, v9
	v_mul_lo_u32 v54, v24, v92
	v_and_b32_e32 v8, 0x7f8, v8
	s_delay_alu instid0(VALU_DEP_2)
	v_and_b32_e32 v56, 0xff, v54
	s_wait_loadcnt_dscnt 0x201
	v_mul_f32_e32 v136, v21, v45
	s_clause 0x3
	global_load_b64 v[72:73], v4, s[0:1]
	global_load_b64 v[74:75], v0, s[0:1] offset:2048
	global_load_b64 v[66:67], v3, s[0:1]
	global_load_b64 v[68:69], v5, s[0:1] offset:2048
	v_lshrrev_b16 v0, 12, v1
	v_or_b32_e32 v1, 0x60, v89
	v_lshrrev_b32_e32 v3, 5, v10
	v_fmac_f32_e32 v136, v20, v44
	v_lshlrev_b32_e32 v56, 3, v56
	v_mul_lo_u16 v0, v0, 24
	v_mul_lo_u32 v11, v24, v1
	v_and_b32_e32 v1, 0xff, v10
	v_and_b32_e32 v3, 0x7f8, v3
	s_wait_dscnt 0x0
	v_mul_f32_e32 v138, v23, v43
	v_add_nc_u32_e32 v94, 0x90, v89
	v_sub_nc_u16 v0, v87, v0
	v_lshlrev_b32_e32 v1, 3, v1
	s_clause 0x1
	global_load_b64 v[76:77], v1, s[0:1]
	global_load_b64 v[78:79], v3, s[0:1] offset:2048
	v_and_b32_e32 v6, 0xff, v11
	v_lshrrev_b32_e32 v7, 5, v11
	v_lshrrev_b32_e32 v1, 5, v54
	v_mul_lo_u32 v55, v24, v94
	v_and_b32_e32 v0, 0xff, v0
	v_lshlrev_b32_e32 v6, 3, v6
	v_and_b32_e32 v7, 0x7f8, v7
	v_and_b32_e32 v1, 0x7f8, v1
	s_clause 0x3
	global_load_b64 v[80:81], v6, s[0:1]
	global_load_b64 v[82:83], v7, s[0:1] offset:2048
	global_load_b64 v[84:85], v56, s[0:1]
	global_load_b64 v[95:96], v1, s[0:1] offset:2048
	v_dual_fmac_f32 v138, v22, v42 :: v_dual_and_b32 v3, 0xff, v55
	v_add_nc_u32_e32 v1, 24, v0
	v_lshrrev_b32_e32 v57, 5, v55
	v_mul_lo_u32 v5, v24, v0
	v_mul_u32_u24_e32 v4, 6, v0
	v_lshlrev_b32_e32 v3, 3, v3
	v_mul_lo_u32 v58, v24, v1
	v_lshrrev_b32_e32 v1, 13, v2
	v_and_b32_e32 v6, 0x7f8, v57
	v_add_nc_u32_e32 v7, 48, v0
	s_clause 0x1
	global_load_b64 v[97:98], v3, s[0:1]
	global_load_b64 v[99:100], v6, s[0:1] offset:2048
	v_add_nc_u32_e32 v3, 0x48, v0
	v_or_b32_e32 v6, 0x60, v0
	v_add_nc_u32_e32 v56, 0x78, v0
	v_add_nc_u32_e32 v0, 0x90, v0
	v_lshlrev_b32_e32 v57, 3, v4
	v_lshrrev_b32_e32 v101, 5, v5
	v_lshrrev_b32_e32 v102, 13, v5
	v_and_b32_e32 v103, 0x7f8, v1
	v_lshrrev_b32_e32 v10, 13, v10
	v_mul_lo_u32 v59, v24, v7
	v_mul_lo_u32 v62, v24, v3
	;; [unrolled: 1-line block ×4, first 2 shown]
	v_and_b32_e32 v65, 0xff, v5
	s_clause 0x1
	global_load_b128 v[0:3], v57, s[14:15] offset:208
	global_load_b128 v[4:7], v57, s[14:15] offset:192
	v_and_b32_e32 v116, 0x7f8, v101
	v_and_b32_e32 v117, 0x7f8, v102
	global_load_b64 v[101:102], v103, s[0:1] offset:4096
	v_and_b32_e32 v10, 0x7f8, v10
	v_lshrrev_b32_e32 v11, 13, v11
	v_and_b32_e32 v9, 0x7f8, v9
	s_clause 0x2
	global_load_b64 v[103:104], v8, s[0:1] offset:4096
	global_load_b64 v[105:106], v10, s[0:1] offset:4096
	;; [unrolled: 1-line block ×3, first 2 shown]
	v_and_b32_e32 v8, 0x7f8, v11
	v_lshrrev_b32_e32 v9, 13, v54
	v_lshlrev_b32_e32 v115, 3, v65
	v_and_b32_e32 v65, 0xff, v58
	v_lshrrev_b32_e32 v113, 5, v58
	global_load_b64 v[109:110], v8, s[0:1] offset:4096
	v_and_b32_e32 v8, 0x7f8, v9
	v_lshrrev_b32_e32 v9, 13, v55
	v_mul_lo_u32 v56, v24, v56
	v_lshrrev_b32_e32 v58, 13, v58
	v_and_b32_e32 v118, 0xff, v59
	global_load_b64 v[111:112], v8, s[0:1] offset:4096
	v_and_b32_e32 v114, 0x7f8, v9
	global_load_b128 v[8:11], v57, s[14:15] offset:176
	v_lshlrev_b32_e32 v57, 3, v65
	v_and_b32_e32 v65, 0x7f8, v113
	v_and_b32_e32 v54, 0xff, v63
	global_load_b64 v[113:114], v114, s[0:1] offset:4096
	v_lshrrev_b32_e32 v55, 13, v56
	v_and_b32_e32 v58, 0x7f8, v58
	v_lshlrev_b32_e32 v118, 3, v118
	v_lshrrev_b32_e32 v119, 5, v59
	v_lshlrev_b32_e32 v126, 3, v54
	v_and_b32_e32 v128, 0x7f8, v55
	s_clause 0x3
	global_load_b64 v[52:53], v57, s[0:1]
	global_load_b64 v[54:55], v65, s[0:1] offset:2048
	global_load_b64 v[50:51], v58, s[0:1] offset:4096
	global_load_b64 v[12:13], v118, s[0:1]
	v_mul_f32_e32 v118, v17, v49
	v_lshrrev_b32_e32 v59, 13, v59
	v_and_b32_e32 v120, 0xff, v62
	v_lshrrev_b32_e32 v121, 5, v62
	v_lshrrev_b32_e32 v62, 13, v62
	v_and_b32_e32 v123, 0xff, v56
	v_lshrrev_b32_e32 v124, 5, v56
	v_and_b32_e32 v56, 0xff, v64
	v_lshrrev_b32_e32 v125, 5, v64
	v_lshrrev_b32_e32 v64, 13, v64
	v_dual_fmac_f32 v118, v16, v48 :: v_dual_and_b32 v119, 0x7f8, v119
	v_dual_mul_f32 v16, v21, v44 :: v_dual_mul_f32 v17, v23, v42
	v_lshrrev_b32_e32 v122, 5, v63
	v_and_b32_e32 v59, 0x7f8, v59
	v_lshrrev_b32_e32 v63, 13, v63
	v_lshlrev_b32_e32 v120, 3, v120
	v_and_b32_e32 v121, 0x7f8, v121
	v_and_b32_e32 v62, 0x7f8, v62
	v_lshlrev_b32_e32 v123, 3, v123
	v_and_b32_e32 v132, 0x7f8, v64
	s_clause 0x3
	global_load_b64 v[14:15], v119, s[0:1] offset:2048
	global_load_b64 v[18:19], v59, s[0:1] offset:4096
	global_load_b64 v[46:47], v120, s[0:1]
	global_load_b64 v[64:65], v121, s[0:1] offset:2048
	v_fma_f32 v119, v20, v45, -v16
	v_fma_f32 v120, v22, v43, -v17
	s_wait_loadcnt 0x1e
	v_mul_f32_e32 v16, v61, v71
	v_dual_mul_f32 v121, v60, v71 :: v_dual_and_b32 v122, 0x7f8, v122
	v_and_b32_e32 v124, 0x7f8, v124
	v_and_b32_e32 v127, 0x7f8, v63
	v_lshlrev_b32_e32 v129, 3, v56
	s_clause 0x3
	global_load_b64 v[56:57], v62, s[0:1] offset:4096
	global_load_b64 v[58:59], v126, s[0:1]
	global_load_b64 v[62:63], v122, s[0:1] offset:2048
	global_load_b64 v[44:45], v127, s[0:1] offset:4096
	v_sub_f32_e32 v127, v139, v137
	v_and_b32_e32 v125, 0x7f8, v125
	v_fma_f32 v122, v60, v70, -v16
	v_fmac_f32_e32 v121, v61, v70
	s_wait_loadcnt 0x20
	v_mul_f32_e32 v17, v73, v75
	s_wait_loadcnt 0x1e
	v_dual_mul_f32 v75, v72, v75 :: v_dual_mul_f32 v70, v67, v69
	v_mul_f32_e32 v126, v66, v69
	s_delay_alu instid0(VALU_DEP_3)
	v_fma_f32 v72, v72, v74, -v17
	s_clause 0x5
	global_load_b64 v[48:49], v123, s[0:1]
	global_load_b64 v[60:61], v124, s[0:1] offset:2048
	global_load_b64 v[42:43], v128, s[0:1] offset:4096
	global_load_b64 v[20:21], v129, s[0:1]
	global_load_b64 v[22:23], v125, s[0:1] offset:2048
	global_load_b64 v[16:17], v132, s[0:1] offset:4096
	v_fmac_f32_e32 v75, v73, v74
	v_fma_f32 v73, v66, v68, -v70
	v_fmac_f32_e32 v126, v67, v68
	v_dual_add_f32 v74, v130, v138 :: v_dual_sub_f32 v123, v131, v136
	v_add_f32_e32 v124, v134, v119
	v_sub_f32_e32 v119, v134, v119
	s_delay_alu instid0(VALU_DEP_1) | instskip(SKIP_3) | instid1(VALU_DEP_2)
	v_add_f32_e32 v129, v127, v119
	s_wait_loadcnt 0x22
	v_mul_f32_e32 v125, v77, v79
	v_mul_f32_e32 v79, v76, v79
	v_fma_f32 v76, v76, v78, -v125
	s_delay_alu instid0(VALU_DEP_2)
	v_fmac_f32_e32 v79, v77, v78
	v_dual_add_f32 v77, v118, v135 :: v_dual_sub_f32 v118, v135, v118
	v_add_f32_e32 v78, v137, v139
	s_wait_loadcnt 0x20
	v_mul_f32_e32 v125, v81, v83
	s_wait_loadcnt 0x1e
	v_mul_f32_e32 v128, v85, v96
	s_clause 0x2
	global_load_b64 v[68:69], v115, s[0:1]
	global_load_b64 v[70:71], v116, s[0:1] offset:2048
	global_load_b64 v[66:67], v117, s[0:1] offset:4096
	v_mul_f32_e32 v83, v80, v83
	v_dual_add_f32 v115, v133, v120 :: v_dual_sub_f32 v116, v130, v138
	v_sub_f32_e32 v117, v133, v120
	v_add_f32_e32 v120, v131, v136
	v_mul_f32_e32 v96, v84, v96
	v_fma_f32 v80, v80, v82, -v125
	v_fmac_f32_e32 v83, v81, v82
	v_fma_f32 v84, v84, v95, -v128
	v_add_f32_e32 v128, v118, v123
	v_dual_fmac_f32 v96, v85, v95 :: v_dual_sub_f32 v85, v120, v74
	s_wait_loadcnt 0x1f
	v_mul_f32_e32 v81, v98, v100
	v_mul_f32_e32 v82, v97, v100
	v_add_f32_e32 v100, v120, v74
	v_dual_sub_f32 v120, v77, v120 :: v_dual_add_f32 v125, v124, v115
	s_delay_alu instid0(VALU_DEP_4) | instskip(NEXT) | instid1(VALU_DEP_4)
	v_fma_f32 v81, v97, v99, -v81
	v_fmac_f32_e32 v82, v98, v99
	v_sub_f32_e32 v98, v127, v119
	v_sub_f32_e32 v97, v118, v123
	v_dual_sub_f32 v99, v116, v118 :: v_dual_sub_f32 v118, v117, v127
	v_sub_f32_e32 v123, v123, v116
	v_dual_sub_f32 v95, v124, v115 :: v_dual_sub_f32 v74, v74, v77
	v_dual_sub_f32 v115, v115, v78 :: v_dual_sub_f32 v124, v78, v124
	v_sub_f32_e32 v119, v119, v117
	s_delay_alu instid0(VALU_DEP_3)
	v_dual_add_f32 v77, v77, v100 :: v_dual_mul_f32 v74, 0x3f4a47b2, v74
	s_wait_loadcnt 0x1c
	v_mul_f32_e32 v127, v121, v102
	v_mul_f32_e32 v102, v122, v102
	v_dual_add_f32 v100, v128, v116 :: v_dual_mul_f32 v115, 0x3f4a47b2, v115
	v_mul_f32_e32 v128, 0xbf5ff5aa, v123
	s_delay_alu instid0(VALU_DEP_4)
	v_fma_f32 v122, v101, v122, -v127
	s_wait_loadcnt 0x1b
	v_dual_mul_f32 v127, v75, v104 :: v_dual_add_f32 v78, v78, v125
	v_dual_add_f32 v116, v129, v117 :: v_dual_mul_f32 v125, 0x3d64c772, v124
	v_mul_f32_e32 v117, 0x3d64c772, v120
	v_dual_mul_f32 v97, 0x3f08b237, v97 :: v_dual_mul_f32 v98, 0x3f08b237, v98
	v_dual_mul_f32 v129, 0xbf5ff5aa, v119 :: v_dual_fmac_f32 v102, v101, v121
	v_mul_f32_e32 v101, v72, v104
	s_wait_loadcnt 0x19
	v_mul_f32_e32 v104, v126, v108
	v_fma_f32 v121, v103, v72, -v127
	v_mul_f32_e32 v72, v79, v106
	v_dual_add_f32 v40, v77, v40 :: v_dual_add_f32 v41, v78, v41
	v_dual_mul_f32 v108, v73, v108 :: v_dual_fmac_f32 v101, v103, v75
	s_wait_loadcnt 0x18
	v_mul_f32_e32 v103, v83, v110
	v_mul_f32_e32 v75, v76, v106
	;; [unrolled: 1-line block ×3, first 2 shown]
	v_fmamk_f32 v110, v120, 0x3d64c772, v74
	v_fma_f32 v117, 0x3f3bfb3b, v85, -v117
	v_fma_f32 v74, 0xbf3bfb3b, v85, -v74
	s_wait_loadcnt 0x17
	v_mul_f32_e32 v85, v96, v112
	v_dual_mul_f32 v112, v84, v112 :: v_dual_fmac_f32 v75, v105, v79
	v_fma_f32 v119, 0xbf5ff5aa, v119, -v98
	v_fma_f32 v73, v107, v73, -v104
	;; [unrolled: 1-line block ×3, first 2 shown]
	v_fmamk_f32 v72, v77, 0xbf955555, v40
	v_fmamk_f32 v120, v124, 0x3d64c772, v115
	v_fma_f32 v124, 0x3f3bfb3b, v95, -v125
	v_fma_f32 v95, 0xbf3bfb3b, v95, -v115
	;; [unrolled: 1-line block ×3, first 2 shown]
	v_add_f32_e32 v79, v117, v72
	v_fmamk_f32 v97, v99, 0xbeae86e6, v97
	v_fma_f32 v99, 0x3eae86e6, v99, -v128
	s_wait_loadcnt 0x15
	v_mul_f32_e32 v123, v82, v114
	v_fmamk_f32 v98, v118, 0xbeae86e6, v98
	v_fma_f32 v118, 0x3eae86e6, v118, -v129
	v_dual_mul_f32 v114, v81, v114 :: v_dual_fmac_f32 v97, 0xbee1c552, v100
	v_dual_fmac_f32 v108, v107, v126 :: v_dual_fmac_f32 v115, 0xbee1c552, v100
	v_dual_fmac_f32 v106, v109, v83 :: v_dual_fmac_f32 v119, 0xbee1c552, v116
	v_dual_fmac_f32 v112, v111, v96 :: v_dual_mul_f32 v77, v40, v102
	v_fmamk_f32 v76, v78, 0xbf955555, v41
	v_fma_f32 v103, v109, v80, -v103
	v_dual_fmac_f32 v114, v113, v82 :: v_dual_fmac_f32 v99, 0xbee1c552, v100
	v_fmac_f32_e32 v98, 0xbee1c552, v116
	v_mul_f32_e32 v82, v41, v102
	v_add_f32_e32 v80, v124, v76
	v_fma_f32 v83, v41, v122, -v77
	v_dual_sub_f32 v41, v79, v119 :: v_dual_add_f32 v78, v110, v72
	v_add_f32_e32 v72, v74, v72
	v_add_f32_e32 v74, v120, v76
	v_fmac_f32_e32 v118, 0xbee1c552, v116
	v_add_f32_e32 v76, v95, v76
	v_fma_f32 v96, v113, v81, -v123
	v_add_f32_e32 v95, v119, v79
	v_sub_f32_e32 v77, v74, v97
	v_dual_add_f32 v97, v97, v74 :: v_dual_add_f32 v100, v118, v72
	v_sub_f32_e32 v81, v76, v99
	v_fmac_f32_e32 v82, v40, v122
	v_sub_f32_e32 v107, v72, v118
	v_add_f32_e32 v40, v98, v78
	v_sub_f32_e32 v98, v78, v98
	v_fma_f32 v105, v111, v84, -v85
	v_mul_f32_e32 v84, v77, v101
	s_delay_alu instid0(VALU_DEP_4)
	v_dual_mul_f32 v74, v97, v114 :: v_dual_mul_f32 v85, v40, v101
	v_mul_f32_e32 v101, v100, v108
	v_add_f32_e32 v99, v99, v76
	v_mul_f32_e32 v109, v98, v114
	v_dual_add_f32 v79, v115, v80 :: v_dual_sub_f32 v102, v80, v115
	v_mul_f32_e32 v80, v81, v108
	v_mul_f32_e32 v108, v41, v75
	;; [unrolled: 1-line block ×3, first 2 shown]
	s_delay_alu instid0(VALU_DEP_4)
	v_mul_f32_e32 v78, v79, v75
	v_mul_f32_e32 v75, v95, v106
	;; [unrolled: 1-line block ×4, first 2 shown]
	v_fma_f32 v85, v77, v121, -v85
	v_fmac_f32_e32 v84, v40, v121
	v_fma_f32 v81, v81, v73, -v101
	v_fmac_f32_e32 v80, v100, v73
	;; [unrolled: 2-line block ×4, first 2 shown]
	v_fmac_f32_e32 v72, v107, v105
	v_fma_f32 v73, v99, v105, -v106
	v_fmac_f32_e32 v74, v98, v96
	v_fma_f32 v75, v97, v96, -v109
	s_wait_alu 0xfffe
	s_cbranch_vccnz .LBB0_18
; %bb.17:
	v_mad_co_u64_u32 v[40:41], null, s6, v88, 0
	v_mad_co_u64_u32 v[97:98], null, s4, v90, 0
	;; [unrolled: 1-line block ×3, first 2 shown]
	s_lshl_b64 s[0:1], s[10:11], 3
	v_add_nc_u32_e32 v106, 0x60, v89
	s_wait_loadcnt 0x6
	s_delay_alu instid0(VALU_DEP_4)
	v_mad_co_u64_u32 v[99:100], null, s7, v88, v[41:42]
	v_mad_co_u64_u32 v[100:101], null, s4, v91, 0
	v_mov_b32_e32 v41, v98
	v_mad_co_u64_u32 v[102:103], null, s5, v89, v[96:97]
	s_add_nc_u64 s[0:1], s[8:9], s[0:1]
	s_and_b32 s16, s2, exec_lo
	s_delay_alu instid0(VALU_DEP_3) | instskip(SKIP_1) | instid1(VALU_DEP_3)
	v_mov_b32_e32 v98, v101
	v_mad_co_u64_u32 v[103:104], null, s5, v90, v[41:42]
	v_dual_mov_b32 v41, v99 :: v_dual_mov_b32 v96, v102
	s_delay_alu instid0(VALU_DEP_3) | instskip(SKIP_1) | instid1(VALU_DEP_3)
	v_mad_co_u64_u32 v[101:102], null, s5, v91, v[98:99]
	v_mad_co_u64_u32 v[104:105], null, s4, v92, 0
	v_lshlrev_b64_e32 v[40:41], 3, v[40:41]
	s_delay_alu instid0(VALU_DEP_4) | instskip(SKIP_2) | instid1(VALU_DEP_4)
	v_lshlrev_b64_e32 v[95:96], 3, v[95:96]
	v_mov_b32_e32 v98, v103
	v_mad_co_u64_u32 v[102:103], null, s4, v93, 0
	v_add_co_u32 v40, vcc_lo, s0, v40
	s_wait_alu 0xfffd
	v_add_co_ci_u32_e32 v41, vcc_lo, s1, v41, vcc_lo
	v_lshlrev_b64_e32 v[97:98], 3, v[97:98]
	s_delay_alu instid0(VALU_DEP_3) | instskip(SKIP_1) | instid1(VALU_DEP_3)
	v_add_co_u32 v95, vcc_lo, v40, v95
	s_wait_alu 0xfffd
	v_add_co_ci_u32_e32 v96, vcc_lo, v41, v96, vcc_lo
	global_store_b64 v[95:96], v[82:83], off
	v_add_co_u32 v95, vcc_lo, v40, v97
	s_wait_alu 0xfffd
	v_add_co_ci_u32_e32 v96, vcc_lo, v41, v98, vcc_lo
	v_lshlrev_b64_e32 v[97:98], 3, v[100:101]
	v_mad_co_u64_u32 v[99:100], null, s4, v106, 0
	global_store_b64 v[95:96], v[84:85], off
	v_mov_b32_e32 v95, v103
	v_add_co_u32 v96, vcc_lo, v40, v97
	s_wait_alu 0xfffd
	v_add_co_ci_u32_e32 v97, vcc_lo, v41, v98, vcc_lo
	v_mov_b32_e32 v98, v100
	s_delay_alu instid0(VALU_DEP_3)
	v_mad_co_u64_u32 v[100:101], null, s5, v93, v[95:96]
	v_mov_b32_e32 v95, v105
	global_store_b64 v[96:97], v[80:81], off
	v_mov_b32_e32 v103, v100
	v_mad_co_u64_u32 v[106:107], null, s5, v106, v[98:99]
	v_mad_co_u64_u32 v[107:108], null, s4, v94, 0
	s_delay_alu instid0(VALU_DEP_3) | instskip(NEXT) | instid1(VALU_DEP_1)
	v_lshlrev_b64_e32 v[96:97], 3, v[102:103]
	v_mad_co_u64_u32 v[101:102], null, s5, v92, v[95:96]
	s_delay_alu instid0(VALU_DEP_4) | instskip(NEXT) | instid1(VALU_DEP_4)
	v_mov_b32_e32 v100, v106
	v_mov_b32_e32 v98, v108
	v_add_co_u32 v95, vcc_lo, v40, v96
	s_wait_alu 0xfffd
	v_add_co_ci_u32_e32 v96, vcc_lo, v41, v97, vcc_lo
	v_mov_b32_e32 v105, v101
	v_lshlrev_b64_e32 v[99:100], 3, v[99:100]
	global_store_b64 v[95:96], v[78:79], off
	v_lshlrev_b64_e32 v[95:96], 3, v[104:105]
	v_mad_co_u64_u32 v[102:103], null, s5, v94, v[98:99]
	v_add_co_u32 v97, vcc_lo, v40, v99
	s_wait_alu 0xfffd
	v_add_co_ci_u32_e32 v98, vcc_lo, v41, v100, vcc_lo
	s_delay_alu instid0(VALU_DEP_4) | instskip(NEXT) | instid1(VALU_DEP_4)
	v_add_co_u32 v95, vcc_lo, v40, v95
	v_mov_b32_e32 v108, v102
	global_store_b64 v[97:98], v[76:77], off
	s_wait_alu 0xfffd
	v_add_co_ci_u32_e32 v96, vcc_lo, v41, v96, vcc_lo
	v_lshlrev_b64_e32 v[97:98], 3, v[107:108]
	global_store_b64 v[95:96], v[72:73], off
	v_add_co_u32 v97, vcc_lo, v40, v97
	s_wait_alu 0xfffd
	v_add_co_ci_u32_e32 v98, vcc_lo, v41, v98, vcc_lo
	global_store_b64 v[97:98], v[74:75], off
	s_cbranch_execz .LBB0_19
	s_branch .LBB0_22
.LBB0_18:
                                        ; implicit-def: $vgpr40_vgpr41
.LBB0_19:
	s_mov_b32 s0, exec_lo
                                        ; implicit-def: $vgpr40_vgpr41
	v_cmpx_gt_u64_e64 s[12:13], v[24:25]
	s_cbranch_execz .LBB0_21
; %bb.20:
	v_mad_co_u64_u32 v[24:25], null, s6, v88, 0
	v_mad_co_u64_u32 v[95:96], null, s4, v90, 0
	;; [unrolled: 1-line block ×3, first 2 shown]
	s_wait_alu 0xfffe
	s_and_not1_b32 s1, s16, exec_lo
	s_and_b32 s2, s2, exec_lo
	s_delay_alu instid0(VALU_DEP_3) | instskip(SKIP_1) | instid1(VALU_DEP_4)
	v_mad_co_u64_u32 v[97:98], null, s7, v88, v[25:26]
	v_mad_co_u64_u32 v[98:99], null, s4, v91, 0
	v_mov_b32_e32 v25, v96
	s_wait_loadcnt 0x6
	v_mad_co_u64_u32 v[100:101], null, s5, v89, v[41:42]
	s_lshl_b64 s[6:7], s[10:11], 3
	s_wait_alu 0xfffe
	s_or_b32 s16, s1, s2
	s_add_nc_u64 s[6:7], s[8:9], s[6:7]
	v_mov_b32_e32 v88, v99
	v_mad_co_u64_u32 v[101:102], null, s5, v90, v[25:26]
	v_mov_b32_e32 v25, v97
	v_mov_b32_e32 v41, v100
	s_delay_alu instid0(VALU_DEP_4) | instskip(NEXT) | instid1(VALU_DEP_4)
	v_mad_co_u64_u32 v[90:91], null, s5, v91, v[88:89]
	v_mov_b32_e32 v96, v101
	s_delay_alu instid0(VALU_DEP_4) | instskip(NEXT) | instid1(VALU_DEP_4)
	v_lshlrev_b64_e32 v[24:25], 3, v[24:25]
	v_lshlrev_b64_e32 v[99:100], 3, v[40:41]
	s_wait_alu 0xfffe
	s_delay_alu instid0(VALU_DEP_2) | instskip(SKIP_1) | instid1(VALU_DEP_3)
	v_add_co_u32 v40, vcc_lo, s6, v24
	s_wait_alu 0xfffd
	v_add_co_ci_u32_e32 v41, vcc_lo, s7, v25, vcc_lo
	v_lshlrev_b64_e32 v[24:25], 3, v[95:96]
	s_delay_alu instid0(VALU_DEP_3) | instskip(SKIP_1) | instid1(VALU_DEP_3)
	v_add_co_u32 v95, vcc_lo, v40, v99
	s_wait_alu 0xfffd
	v_add_co_ci_u32_e32 v96, vcc_lo, v41, v100, vcc_lo
	v_mad_co_u64_u32 v[100:101], null, s4, v93, 0
	s_delay_alu instid0(VALU_DEP_4)
	v_add_co_u32 v24, vcc_lo, v40, v24
	global_store_b64 v[95:96], v[82:83], off
	v_mad_co_u64_u32 v[95:96], null, s4, v94, 0
	v_add_nc_u32_e32 v97, 0x60, v89
	s_wait_alu 0xfffd
	v_add_co_ci_u32_e32 v25, vcc_lo, v41, v25, vcc_lo
	v_mov_b32_e32 v99, v90
	v_mad_co_u64_u32 v[90:91], null, s4, v92, 0
	v_mad_co_u64_u32 v[88:89], null, s4, v97, 0
	global_store_b64 v[24:25], v[84:85], off
	v_mov_b32_e32 v24, v101
	v_lshlrev_b64_e32 v[82:83], 3, v[98:99]
	v_mov_b32_e32 v25, v89
	s_delay_alu instid0(VALU_DEP_2) | instskip(SKIP_1) | instid1(VALU_DEP_3)
	v_add_co_u32 v82, vcc_lo, v40, v82
	s_wait_alu 0xfffd
	v_add_co_ci_u32_e32 v83, vcc_lo, v41, v83, vcc_lo
	s_delay_alu instid0(VALU_DEP_3)
	v_mad_co_u64_u32 v[84:85], null, s5, v93, v[24:25]
	v_mad_co_u64_u32 v[24:25], null, s5, v97, v[25:26]
	v_mov_b32_e32 v25, v91
	global_store_b64 v[82:83], v[80:81], off
	v_mov_b32_e32 v101, v84
	v_mad_co_u64_u32 v[82:83], null, s5, v92, v[25:26]
	v_dual_mov_b32 v89, v24 :: v_dual_mov_b32 v24, v96
	s_delay_alu instid0(VALU_DEP_3) | instskip(NEXT) | instid1(VALU_DEP_2)
	v_lshlrev_b64_e32 v[80:81], 3, v[100:101]
	v_lshlrev_b64_e32 v[83:84], 3, v[88:89]
	s_delay_alu instid0(VALU_DEP_3) | instskip(NEXT) | instid1(VALU_DEP_3)
	v_mad_co_u64_u32 v[24:25], null, s5, v94, v[24:25]
	v_add_co_u32 v80, vcc_lo, v40, v80
	s_wait_alu 0xfffd
	s_delay_alu instid0(VALU_DEP_4)
	v_add_co_ci_u32_e32 v81, vcc_lo, v41, v81, vcc_lo
	v_mov_b32_e32 v91, v82
	v_add_co_u32 v82, vcc_lo, v40, v83
	v_mov_b32_e32 v96, v24
	s_wait_alu 0xfffd
	v_add_co_ci_u32_e32 v83, vcc_lo, v41, v84, vcc_lo
	v_lshlrev_b64_e32 v[24:25], 3, v[90:91]
	s_clause 0x1
	global_store_b64 v[80:81], v[78:79], off
	global_store_b64 v[82:83], v[76:77], off
	v_lshlrev_b64_e32 v[76:77], 3, v[95:96]
	v_add_co_u32 v24, vcc_lo, v40, v24
	s_wait_alu 0xfffd
	v_add_co_ci_u32_e32 v25, vcc_lo, v41, v25, vcc_lo
	s_delay_alu instid0(VALU_DEP_3)
	v_add_co_u32 v76, vcc_lo, v40, v76
	s_wait_alu 0xfffd
	v_add_co_ci_u32_e32 v77, vcc_lo, v41, v77, vcc_lo
	s_clause 0x1
	global_store_b64 v[24:25], v[72:73], off
	global_store_b64 v[76:77], v[74:75], off
.LBB0_21:
	s_wait_alu 0xfffe
	s_or_b32 exec_lo, exec_lo, s0
.LBB0_22:
	s_wait_alu 0xfffe
	s_and_saveexec_b32 s0, s16
	s_cbranch_execnz .LBB0_24
; %bb.23:
	s_nop 0
	s_sendmsg sendmsg(MSG_DEALLOC_VGPRS)
	s_endpgm
.LBB0_24:
	v_dual_mul_f32 v24, v35, v9 :: v_dual_mul_f32 v25, v33, v11
	v_mul_f32_e32 v9, v34, v9
	s_delay_alu instid0(VALU_DEP_2) | instskip(SKIP_1) | instid1(VALU_DEP_3)
	v_dual_mul_f32 v11, v32, v11 :: v_dual_fmac_f32 v24, v34, v8
	v_mul_f32_e32 v34, v29, v7
	v_fma_f32 v8, v35, v8, -v9
	v_mul_f32_e32 v9, v31, v5
	v_mul_f32_e32 v5, v30, v5
	v_fmac_f32_e32 v25, v32, v10
	v_fma_f32 v10, v33, v10, -v11
	s_delay_alu instid0(VALU_DEP_4) | instskip(NEXT) | instid1(VALU_DEP_4)
	v_dual_fmac_f32 v34, v28, v6 :: v_dual_fmac_f32 v9, v30, v4
	v_fma_f32 v4, v31, v4, -v5
	v_mul_f32_e32 v11, v37, v1
	v_mul_f32_e32 v1, v36, v1
	;; [unrolled: 1-line block ×3, first 2 shown]
	s_delay_alu instid0(VALU_DEP_3) | instskip(NEXT) | instid1(VALU_DEP_3)
	v_fmac_f32_e32 v11, v36, v0
	v_fma_f32 v0, v37, v0, -v1
	v_mul_f32_e32 v5, v39, v3
	v_mul_f32_e32 v3, v38, v3
	s_delay_alu instid0(VALU_DEP_2) | instskip(NEXT) | instid1(VALU_DEP_2)
	v_fmac_f32_e32 v5, v38, v2
	v_fma_f32 v2, v39, v2, -v3
	v_fma_f32 v3, v29, v6, -v7
	s_delay_alu instid0(VALU_DEP_2)
	v_add_f32_e32 v6, v8, v2
	v_sub_f32_e32 v2, v8, v2
	v_add_f32_e32 v8, v10, v0
	v_sub_f32_e32 v0, v10, v0
	v_dual_add_f32 v10, v9, v34 :: v_dual_sub_f32 v9, v34, v9
	v_add_f32_e32 v1, v24, v5
	v_sub_f32_e32 v5, v24, v5
	v_add_f32_e32 v24, v4, v3
	v_add_f32_e32 v7, v25, v11
	s_delay_alu instid0(VALU_DEP_1) | instskip(SKIP_1) | instid1(VALU_DEP_4)
	v_dual_sub_f32 v29, v8, v6 :: v_dual_sub_f32 v28, v7, v1
	v_sub_f32_e32 v11, v25, v11
	v_dual_add_f32 v25, v8, v6 :: v_dual_sub_f32 v6, v6, v24
	v_sub_f32_e32 v3, v3, v4
	v_sub_f32_e32 v8, v24, v8
	s_delay_alu instid0(VALU_DEP_2)
	v_dual_mul_f32 v6, 0x3f4a47b2, v6 :: v_dual_add_f32 v31, v3, v0
	v_dual_sub_f32 v33, v3, v0 :: v_dual_sub_f32 v0, v0, v2
	v_sub_f32_e32 v32, v9, v11
	v_dual_add_f32 v4, v7, v1 :: v_dual_sub_f32 v1, v1, v10
	v_sub_f32_e32 v7, v10, v7
	v_sub_f32_e32 v3, v2, v3
	s_delay_alu instid0(VALU_DEP_3) | instskip(SKIP_2) | instid1(VALU_DEP_3)
	v_add_f32_e32 v4, v10, v4
	v_add_f32_e32 v10, v24, v25
	;; [unrolled: 1-line block ×4, first 2 shown]
	s_delay_alu instid0(VALU_DEP_1) | instskip(SKIP_2) | instid1(VALU_DEP_3)
	v_dual_fmamk_f32 v4, v4, 0xbf955555, v24 :: v_dual_add_f32 v25, v27, v10
	v_sub_f32_e32 v9, v5, v9
	v_dual_mul_f32 v27, 0x3d64c772, v8 :: v_dual_fmamk_f32 v8, v8, 0x3d64c772, v6
	v_dual_fmamk_f32 v10, v10, 0xbf955555, v25 :: v_dual_sub_f32 v11, v11, v5
	v_dual_add_f32 v5, v30, v5 :: v_dual_mul_f32 v30, 0x3f08b237, v32
	s_delay_alu instid0(VALU_DEP_2) | instskip(NEXT) | instid1(VALU_DEP_3)
	v_add_f32_e32 v8, v8, v10
	v_mul_f32_e32 v32, 0xbf5ff5aa, v11
	v_add_f32_e32 v2, v31, v2
	v_mul_f32_e32 v26, 0x3d64c772, v7
	v_fma_f32 v6, 0xbf3bfb3b, v29, -v6
	v_mul_f32_e32 v1, 0x3f4a47b2, v1
	v_fma_f32 v27, 0x3f3bfb3b, v29, -v27
	s_delay_alu instid0(VALU_DEP_4) | instskip(NEXT) | instid1(VALU_DEP_1)
	v_fma_f32 v26, 0x3f3bfb3b, v28, -v26
	v_dual_add_f32 v27, v27, v10 :: v_dual_add_f32 v26, v26, v4
	s_delay_alu instid0(VALU_DEP_4)
	v_fmamk_f32 v7, v7, 0x3d64c772, v1
	v_fma_f32 v1, 0xbf3bfb3b, v28, -v1
	v_fmamk_f32 v28, v9, 0xbeae86e6, v30
	v_fma_f32 v9, 0x3eae86e6, v9, -v32
	v_fma_f32 v11, 0xbf5ff5aa, v11, -v30
	v_add_f32_e32 v7, v7, v4
	s_delay_alu instid0(VALU_DEP_4) | instskip(SKIP_1) | instid1(VALU_DEP_2)
	v_dual_add_f32 v1, v1, v4 :: v_dual_fmac_f32 v28, 0xbee1c552, v5
	v_dual_mul_f32 v31, 0x3f08b237, v33 :: v_dual_add_f32 v4, v6, v10
	v_dual_fmac_f32 v9, 0xbee1c552, v5 :: v_dual_sub_f32 v6, v8, v28
	v_add_f32_e32 v28, v28, v8
	s_delay_alu instid0(VALU_DEP_2) | instskip(NEXT) | instid1(VALU_DEP_4)
	v_dual_mul_f32 v33, 0xbf5ff5aa, v0 :: v_dual_sub_f32 v30, v4, v9
	v_fma_f32 v0, 0xbf5ff5aa, v0, -v31
	s_wait_loadcnt 0x10
	v_dual_fmamk_f32 v29, v3, 0xbeae86e6, v31 :: v_dual_mul_f32 v8, v13, v15
	s_delay_alu instid0(VALU_DEP_3) | instskip(NEXT) | instid1(VALU_DEP_3)
	v_fma_f32 v3, 0x3eae86e6, v3, -v33
	v_dual_add_f32 v33, v9, v4 :: v_dual_fmac_f32 v0, 0xbee1c552, v2
	v_mul_f32_e32 v15, v12, v15
	s_delay_alu instid0(VALU_DEP_2) | instskip(SKIP_2) | instid1(VALU_DEP_3)
	v_dual_sub_f32 v31, v26, v0 :: v_dual_add_f32 v26, v0, v26
	s_wait_loadcnt 0x1
	v_mul_f32_e32 v0, v69, v71
	v_fmac_f32_e32 v15, v13, v14
	s_delay_alu instid0(VALU_DEP_2) | instskip(SKIP_1) | instid1(VALU_DEP_3)
	v_fma_f32 v0, v68, v70, -v0
	v_fmac_f32_e32 v11, 0xbee1c552, v5
	v_mul_f32_e32 v13, v15, v19
	s_wait_loadcnt 0x0
	s_delay_alu instid0(VALU_DEP_3) | instskip(SKIP_3) | instid1(VALU_DEP_3)
	v_dual_mul_f32 v4, v0, v67 :: v_dual_fmac_f32 v29, 0xbee1c552, v2
	v_dual_fmac_f32 v3, 0xbee1c552, v2 :: v_dual_mul_f32 v2, v53, v55
	v_add_f32_e32 v32, v11, v27
	v_sub_f32_e32 v11, v27, v11
	v_dual_add_f32 v10, v3, v1 :: v_dual_sub_f32 v27, v1, v3
	v_mul_f32_e32 v3, v52, v55
	v_fma_f32 v2, v52, v54, -v2
	s_delay_alu instid0(VALU_DEP_2) | instskip(NEXT) | instid1(VALU_DEP_2)
	v_fmac_f32_e32 v3, v53, v54
	v_mul_f32_e32 v9, v2, v51
	s_delay_alu instid0(VALU_DEP_1) | instskip(SKIP_3) | instid1(VALU_DEP_2)
	v_fmac_f32_e32 v9, v50, v3
	v_add_f32_e32 v5, v29, v7
	v_mul_f32_e32 v1, v68, v71
	v_sub_f32_e32 v29, v7, v29
	v_fmac_f32_e32 v1, v69, v70
	s_delay_alu instid0(VALU_DEP_1) | instskip(SKIP_1) | instid1(VALU_DEP_2)
	v_dual_mul_f32 v7, v1, v67 :: v_dual_fmac_f32 v4, v66, v1
	v_mul_f32_e32 v1, v3, v51
	v_fma_f32 v7, v66, v0, -v7
	s_delay_alu instid0(VALU_DEP_3) | instskip(SKIP_1) | instid1(VALU_DEP_4)
	v_mul_f32_e32 v3, v24, v4
	v_mul_f32_e32 v0, v25, v4
	v_fma_f32 v4, v50, v2, -v1
	v_mul_f32_e32 v2, v6, v9
	s_delay_alu instid0(VALU_DEP_4) | instskip(NEXT) | instid1(VALU_DEP_4)
	v_fma_f32 v1, v25, v7, -v3
	v_dual_mul_f32 v3, v47, v65 :: v_dual_fmac_f32 v0, v24, v7
	v_fma_f32 v7, v12, v14, -v8
	s_delay_alu instid0(VALU_DEP_4) | instskip(SKIP_4) | instid1(VALU_DEP_4)
	v_fmac_f32_e32 v2, v5, v4
	v_mul_f32_e32 v5, v5, v9
	v_mul_f32_e32 v9, v46, v65
	v_fma_f32 v12, v46, v64, -v3
	v_dual_mul_f32 v8, v7, v19 :: v_dual_add_nc_u32 v25, 38, v86
	v_fma_f32 v3, v6, v4, -v5
	s_delay_alu instid0(VALU_DEP_3) | instskip(SKIP_1) | instid1(VALU_DEP_2)
	v_dual_fmac_f32 v9, v47, v64 :: v_dual_mul_f32 v14, v12, v57
	v_fma_f32 v5, v18, v7, -v13
	v_dual_mul_f32 v6, v59, v63 :: v_dual_mul_f32 v7, v9, v57
	s_delay_alu instid0(VALU_DEP_3) | instskip(NEXT) | instid1(VALU_DEP_2)
	v_dual_fmac_f32 v14, v56, v9 :: v_dual_mul_f32 v9, v58, v63
	v_fma_f32 v13, v58, v62, -v6
	s_delay_alu instid0(VALU_DEP_3) | instskip(NEXT) | instid1(VALU_DEP_3)
	v_fma_f32 v7, v56, v12, -v7
	v_mul_f32_e32 v6, v32, v14
	s_delay_alu instid0(VALU_DEP_3) | instskip(NEXT) | instid1(VALU_DEP_2)
	v_mul_f32_e32 v12, v13, v45
	v_fmac_f32_e32 v6, v31, v7
	v_fmac_f32_e32 v8, v18, v15
	s_delay_alu instid0(VALU_DEP_1) | instskip(SKIP_1) | instid1(VALU_DEP_2)
	v_mul_f32_e32 v4, v30, v8
	v_mul_f32_e32 v8, v10, v8
	v_fmac_f32_e32 v4, v10, v5
	v_dual_mul_f32 v10, v49, v61 :: v_dual_fmac_f32 v9, v59, v62
	s_delay_alu instid0(VALU_DEP_3) | instskip(NEXT) | instid1(VALU_DEP_2)
	v_fma_f32 v5, v30, v5, -v8
	v_fma_f32 v15, v48, v60, -v10
	s_delay_alu instid0(VALU_DEP_3) | instskip(SKIP_2) | instid1(VALU_DEP_4)
	v_mul_f32_e32 v8, v9, v45
	v_dual_fmac_f32 v12, v44, v9 :: v_dual_mul_f32 v9, v31, v14
	v_mul_f32_e32 v14, v48, v61
	v_mul_f32_e32 v24, v15, v43
	s_delay_alu instid0(VALU_DEP_4) | instskip(NEXT) | instid1(VALU_DEP_4)
	v_fma_f32 v13, v44, v13, -v8
	v_mul_f32_e32 v8, v11, v12
	v_mul_f32_e32 v12, v26, v12
	v_fmac_f32_e32 v14, v49, v60
	v_fma_f32 v7, v32, v7, -v9
	s_delay_alu instid0(VALU_DEP_4) | instskip(NEXT) | instid1(VALU_DEP_4)
	v_fmac_f32_e32 v8, v26, v13
	v_fma_f32 v9, v11, v13, -v12
	s_delay_alu instid0(VALU_DEP_4) | instskip(SKIP_2) | instid1(VALU_DEP_3)
	v_mul_f32_e32 v12, v14, v43
	v_dual_mul_f32 v13, v21, v23 :: v_dual_fmac_f32 v24, v42, v14
	v_mad_co_u64_u32 v[10:11], null, s4, v87, 0
	v_fma_f32 v15, v42, v15, -v12
	s_delay_alu instid0(VALU_DEP_3) | instskip(SKIP_3) | instid1(VALU_DEP_2)
	v_fma_f32 v26, v20, v22, -v13
	v_mad_co_u64_u32 v[12:13], null, s4, v25, 0
	v_mul_f32_e32 v20, v20, v23
	v_dual_mul_f32 v14, v33, v24 :: v_dual_add_nc_u32 v23, 0x86, v86
	v_fmac_f32_e32 v20, v21, v22
	s_delay_alu instid0(VALU_DEP_4) | instskip(NEXT) | instid1(VALU_DEP_3)
	v_mad_co_u64_u32 v[18:19], null, s5, v87, v[11:12]
	v_dual_mul_f32 v21, v26, v17 :: v_dual_fmac_f32 v14, v27, v15
	v_mov_b32_e32 v11, v13
	v_mul_f32_e32 v13, v27, v24
	v_mul_f32_e32 v17, v20, v17
	s_delay_alu instid0(VALU_DEP_4) | instskip(NEXT) | instid1(VALU_DEP_4)
	v_dual_fmac_f32 v21, v16, v20 :: v_dual_add_nc_u32 v22, 0x6e, v86
	v_mad_co_u64_u32 v[19:20], null, s5, v25, v[11:12]
	v_dual_mov_b32 v11, v18 :: v_dual_add_nc_u32 v20, 62, v86
	s_delay_alu instid0(VALU_DEP_4) | instskip(NEXT) | instid1(VALU_DEP_4)
	v_fma_f32 v17, v16, v26, -v17
	v_mul_f32_e32 v16, v28, v21
	v_fma_f32 v15, v33, v15, -v13
	s_delay_alu instid0(VALU_DEP_4)
	v_lshlrev_b64_e32 v[10:11], 3, v[10:11]
	v_mov_b32_e32 v13, v19
	v_mad_co_u64_u32 v[18:19], null, s4, v20, 0
	v_fmac_f32_e32 v16, v29, v17
	v_mul_f32_e32 v21, v29, v21
	v_add_co_u32 v10, vcc_lo, v40, v10
	s_wait_alu 0xfffd
	v_add_co_ci_u32_e32 v11, vcc_lo, v41, v11, vcc_lo
	v_lshlrev_b64_e32 v[12:13], 3, v[12:13]
	v_add_nc_u32_e32 v25, 0x9e, v86
	global_store_b64 v[10:11], v[0:1], off
	v_mov_b32_e32 v0, v19
	v_fma_f32 v17, v28, v17, -v21
	v_add_nc_u32_e32 v21, 0x56, v86
	v_add_co_u32 v10, vcc_lo, v40, v12
	s_wait_alu 0xfffd
	v_add_co_ci_u32_e32 v11, vcc_lo, v41, v13, vcc_lo
	v_mad_co_u64_u32 v[0:1], null, s5, v20, v[0:1]
	v_mad_co_u64_u32 v[12:13], null, s4, v21, 0
	global_store_b64 v[10:11], v[2:3], off
	v_mad_co_u64_u32 v[1:2], null, s4, v22, 0
	v_mad_co_u64_u32 v[10:11], null, s4, v23, 0
	v_dual_mov_b32 v19, v0 :: v_dual_mov_b32 v0, v13
	s_delay_alu instid0(VALU_DEP_3) | instskip(NEXT) | instid1(VALU_DEP_2)
	v_mad_co_u64_u32 v[2:3], null, s5, v22, v[2:3]
	v_mad_co_u64_u32 v[20:21], null, s5, v21, v[0:1]
	;; [unrolled: 1-line block ×3, first 2 shown]
	s_delay_alu instid0(VALU_DEP_2) | instskip(NEXT) | instid1(VALU_DEP_1)
	v_dual_mov_b32 v0, v11 :: v_dual_mov_b32 v13, v20
	v_mad_co_u64_u32 v[23:24], null, s5, v23, v[0:1]
	s_delay_alu instid0(VALU_DEP_3) | instskip(SKIP_2) | instid1(VALU_DEP_4)
	v_mov_b32_e32 v0, v22
	v_lshlrev_b64_e32 v[18:19], 3, v[18:19]
	v_lshlrev_b64_e32 v[1:2], 3, v[1:2]
	v_mov_b32_e32 v11, v23
	s_delay_alu instid0(VALU_DEP_3) | instskip(SKIP_1) | instid1(VALU_DEP_4)
	v_add_co_u32 v18, vcc_lo, v40, v18
	s_wait_alu 0xfffd
	v_add_co_ci_u32_e32 v19, vcc_lo, v41, v19, vcc_lo
	s_delay_alu instid0(VALU_DEP_3) | instskip(SKIP_3) | instid1(VALU_DEP_2)
	v_lshlrev_b64_e32 v[10:11], 3, v[10:11]
	global_store_b64 v[18:19], v[4:5], off
	v_lshlrev_b64_e32 v[3:4], 3, v[12:13]
	v_mad_co_u64_u32 v[12:13], null, s5, v25, v[0:1]
	v_add_co_u32 v3, vcc_lo, v40, v3
	s_wait_alu 0xfffd
	s_delay_alu instid0(VALU_DEP_3) | instskip(NEXT) | instid1(VALU_DEP_3)
	v_add_co_ci_u32_e32 v4, vcc_lo, v41, v4, vcc_lo
	v_mov_b32_e32 v22, v12
	v_add_co_u32 v0, vcc_lo, v40, v1
	s_wait_alu 0xfffd
	v_add_co_ci_u32_e32 v1, vcc_lo, v41, v2, vcc_lo
	s_delay_alu instid0(VALU_DEP_3) | instskip(SKIP_3) | instid1(VALU_DEP_3)
	v_lshlrev_b64_e32 v[12:13], 3, v[21:22]
	v_add_co_u32 v10, vcc_lo, v40, v10
	s_wait_alu 0xfffd
	v_add_co_ci_u32_e32 v11, vcc_lo, v41, v11, vcc_lo
	v_add_co_u32 v12, vcc_lo, v40, v12
	s_wait_alu 0xfffd
	v_add_co_ci_u32_e32 v13, vcc_lo, v41, v13, vcc_lo
	s_clause 0x3
	global_store_b64 v[3:4], v[6:7], off
	global_store_b64 v[0:1], v[8:9], off
	;; [unrolled: 1-line block ×4, first 2 shown]
	s_nop 0
	s_sendmsg sendmsg(MSG_DEALLOC_VGPRS)
	s_endpgm
	.section	.rodata,"a",@progbits
	.p2align	6, 0x0
	.amdhsa_kernel fft_rtc_back_len168_factors_2_3_4_7_wgs_196_tpt_14_dim3_sp_ip_CI_sbcc_twdbase8_3step_dirReg
		.amdhsa_group_segment_fixed_size 0
		.amdhsa_private_segment_fixed_size 0
		.amdhsa_kernarg_size 88
		.amdhsa_user_sgpr_count 2
		.amdhsa_user_sgpr_dispatch_ptr 0
		.amdhsa_user_sgpr_queue_ptr 0
		.amdhsa_user_sgpr_kernarg_segment_ptr 1
		.amdhsa_user_sgpr_dispatch_id 0
		.amdhsa_user_sgpr_private_segment_size 0
		.amdhsa_wavefront_size32 1
		.amdhsa_uses_dynamic_stack 0
		.amdhsa_enable_private_segment 0
		.amdhsa_system_sgpr_workgroup_id_x 1
		.amdhsa_system_sgpr_workgroup_id_y 0
		.amdhsa_system_sgpr_workgroup_id_z 0
		.amdhsa_system_sgpr_workgroup_info 0
		.amdhsa_system_vgpr_workitem_id 0
		.amdhsa_next_free_vgpr 140
		.amdhsa_next_free_sgpr 25
		.amdhsa_reserve_vcc 1
		.amdhsa_float_round_mode_32 0
		.amdhsa_float_round_mode_16_64 0
		.amdhsa_float_denorm_mode_32 3
		.amdhsa_float_denorm_mode_16_64 3
		.amdhsa_fp16_overflow 0
		.amdhsa_workgroup_processor_mode 1
		.amdhsa_memory_ordered 1
		.amdhsa_forward_progress 0
		.amdhsa_round_robin_scheduling 0
		.amdhsa_exception_fp_ieee_invalid_op 0
		.amdhsa_exception_fp_denorm_src 0
		.amdhsa_exception_fp_ieee_div_zero 0
		.amdhsa_exception_fp_ieee_overflow 0
		.amdhsa_exception_fp_ieee_underflow 0
		.amdhsa_exception_fp_ieee_inexact 0
		.amdhsa_exception_int_div_zero 0
	.end_amdhsa_kernel
	.text
.Lfunc_end0:
	.size	fft_rtc_back_len168_factors_2_3_4_7_wgs_196_tpt_14_dim3_sp_ip_CI_sbcc_twdbase8_3step_dirReg, .Lfunc_end0-fft_rtc_back_len168_factors_2_3_4_7_wgs_196_tpt_14_dim3_sp_ip_CI_sbcc_twdbase8_3step_dirReg
                                        ; -- End function
	.section	.AMDGPU.csdata,"",@progbits
; Kernel info:
; codeLenInByte = 10632
; NumSgprs: 27
; NumVgprs: 140
; ScratchSize: 0
; MemoryBound: 0
; FloatMode: 240
; IeeeMode: 1
; LDSByteSize: 0 bytes/workgroup (compile time only)
; SGPRBlocks: 3
; VGPRBlocks: 17
; NumSGPRsForWavesPerEU: 27
; NumVGPRsForWavesPerEU: 140
; Occupancy: 10
; WaveLimiterHint : 1
; COMPUTE_PGM_RSRC2:SCRATCH_EN: 0
; COMPUTE_PGM_RSRC2:USER_SGPR: 2
; COMPUTE_PGM_RSRC2:TRAP_HANDLER: 0
; COMPUTE_PGM_RSRC2:TGID_X_EN: 1
; COMPUTE_PGM_RSRC2:TGID_Y_EN: 0
; COMPUTE_PGM_RSRC2:TGID_Z_EN: 0
; COMPUTE_PGM_RSRC2:TIDIG_COMP_CNT: 0
	.text
	.p2alignl 7, 3214868480
	.fill 96, 4, 3214868480
	.type	__hip_cuid_d0abf1bebb59b8ca,@object ; @__hip_cuid_d0abf1bebb59b8ca
	.section	.bss,"aw",@nobits
	.globl	__hip_cuid_d0abf1bebb59b8ca
__hip_cuid_d0abf1bebb59b8ca:
	.byte	0                               ; 0x0
	.size	__hip_cuid_d0abf1bebb59b8ca, 1

	.ident	"AMD clang version 19.0.0git (https://github.com/RadeonOpenCompute/llvm-project roc-6.4.0 25133 c7fe45cf4b819c5991fe208aaa96edf142730f1d)"
	.section	".note.GNU-stack","",@progbits
	.addrsig
	.addrsig_sym __hip_cuid_d0abf1bebb59b8ca
	.amdgpu_metadata
---
amdhsa.kernels:
  - .args:
      - .actual_access:  read_only
        .address_space:  global
        .offset:         0
        .size:           8
        .value_kind:     global_buffer
      - .address_space:  global
        .offset:         8
        .size:           8
        .value_kind:     global_buffer
      - .actual_access:  read_only
        .address_space:  global
        .offset:         16
        .size:           8
        .value_kind:     global_buffer
      - .actual_access:  read_only
        .address_space:  global
        .offset:         24
        .size:           8
        .value_kind:     global_buffer
      - .offset:         32
        .size:           8
        .value_kind:     by_value
      - .actual_access:  read_only
        .address_space:  global
        .offset:         40
        .size:           8
        .value_kind:     global_buffer
      - .actual_access:  read_only
        .address_space:  global
        .offset:         48
        .size:           8
        .value_kind:     global_buffer
      - .offset:         56
        .size:           4
        .value_kind:     by_value
      - .actual_access:  read_only
        .address_space:  global
        .offset:         64
        .size:           8
        .value_kind:     global_buffer
      - .actual_access:  read_only
        .address_space:  global
        .offset:         72
        .size:           8
        .value_kind:     global_buffer
      - .address_space:  global
        .offset:         80
        .size:           8
        .value_kind:     global_buffer
    .group_segment_fixed_size: 0
    .kernarg_segment_align: 8
    .kernarg_segment_size: 88
    .language:       OpenCL C
    .language_version:
      - 2
      - 0
    .max_flat_workgroup_size: 196
    .name:           fft_rtc_back_len168_factors_2_3_4_7_wgs_196_tpt_14_dim3_sp_ip_CI_sbcc_twdbase8_3step_dirReg
    .private_segment_fixed_size: 0
    .sgpr_count:     27
    .sgpr_spill_count: 0
    .symbol:         fft_rtc_back_len168_factors_2_3_4_7_wgs_196_tpt_14_dim3_sp_ip_CI_sbcc_twdbase8_3step_dirReg.kd
    .uniform_work_group_size: 1
    .uses_dynamic_stack: false
    .vgpr_count:     140
    .vgpr_spill_count: 0
    .wavefront_size: 32
    .workgroup_processor_mode: 1
amdhsa.target:   amdgcn-amd-amdhsa--gfx1201
amdhsa.version:
  - 1
  - 2
...

	.end_amdgpu_metadata
